;; amdgpu-corpus repo=ROCm/rocFFT kind=compiled arch=gfx906 opt=O3
	.text
	.amdgcn_target "amdgcn-amd-amdhsa--gfx906"
	.amdhsa_code_object_version 6
	.protected	fft_rtc_back_len2250_factors_10_3_5_3_5_wgs_90_tpt_90_halfLds_half_op_CI_CI_sbrr_dirReg ; -- Begin function fft_rtc_back_len2250_factors_10_3_5_3_5_wgs_90_tpt_90_halfLds_half_op_CI_CI_sbrr_dirReg
	.globl	fft_rtc_back_len2250_factors_10_3_5_3_5_wgs_90_tpt_90_halfLds_half_op_CI_CI_sbrr_dirReg
	.p2align	8
	.type	fft_rtc_back_len2250_factors_10_3_5_3_5_wgs_90_tpt_90_halfLds_half_op_CI_CI_sbrr_dirReg,@function
fft_rtc_back_len2250_factors_10_3_5_3_5_wgs_90_tpt_90_halfLds_half_op_CI_CI_sbrr_dirReg: ; @fft_rtc_back_len2250_factors_10_3_5_3_5_wgs_90_tpt_90_halfLds_half_op_CI_CI_sbrr_dirReg
; %bb.0:
	s_load_dwordx4 s[16:19], s[4:5], 0x18
	s_load_dwordx4 s[12:15], s[4:5], 0x0
	;; [unrolled: 1-line block ×3, first 2 shown]
	v_mul_u32_u24_e32 v1, 0x2d9, v0
	v_mov_b32_e32 v7, 0
	s_waitcnt lgkmcnt(0)
	s_load_dwordx2 s[2:3], s[16:17], 0x0
	s_load_dwordx2 s[20:21], s[18:19], 0x0
	v_cmp_lt_u64_e64 s[0:1], s[14:15], 2
	v_mov_b32_e32 v5, 0
	v_add_u32_sdwa v9, s6, v1 dst_sel:DWORD dst_unused:UNUSED_PAD src0_sel:DWORD src1_sel:WORD_1
	v_mov_b32_e32 v10, v7
	s_and_b64 vcc, exec, s[0:1]
	v_mov_b32_e32 v6, 0
	s_cbranch_vccnz .LBB0_8
; %bb.1:
	s_load_dwordx2 s[0:1], s[4:5], 0x10
	s_add_u32 s6, s18, 8
	s_addc_u32 s7, s19, 0
	s_add_u32 s22, s16, 8
	s_addc_u32 s23, s17, 0
	v_mov_b32_e32 v5, 0
	s_waitcnt lgkmcnt(0)
	s_add_u32 s24, s0, 8
	v_mov_b32_e32 v6, 0
	v_mov_b32_e32 v1, v5
	s_addc_u32 s25, s1, 0
	s_mov_b64 s[26:27], 1
	v_mov_b32_e32 v2, v6
.LBB0_2:                                ; =>This Inner Loop Header: Depth=1
	s_load_dwordx2 s[28:29], s[24:25], 0x0
                                        ; implicit-def: $vgpr3_vgpr4
	s_waitcnt lgkmcnt(0)
	v_or_b32_e32 v8, s29, v10
	v_cmp_ne_u64_e32 vcc, 0, v[7:8]
	s_and_saveexec_b64 s[0:1], vcc
	s_xor_b64 s[30:31], exec, s[0:1]
	s_cbranch_execz .LBB0_4
; %bb.3:                                ;   in Loop: Header=BB0_2 Depth=1
	v_cvt_f32_u32_e32 v3, s28
	v_cvt_f32_u32_e32 v4, s29
	s_sub_u32 s0, 0, s28
	s_subb_u32 s1, 0, s29
	v_mac_f32_e32 v3, 0x4f800000, v4
	v_rcp_f32_e32 v3, v3
	v_mul_f32_e32 v3, 0x5f7ffffc, v3
	v_mul_f32_e32 v4, 0x2f800000, v3
	v_trunc_f32_e32 v4, v4
	v_mac_f32_e32 v3, 0xcf800000, v4
	v_cvt_u32_f32_e32 v4, v4
	v_cvt_u32_f32_e32 v3, v3
	v_mul_lo_u32 v8, s0, v4
	v_mul_hi_u32 v11, s0, v3
	v_mul_lo_u32 v13, s1, v3
	v_mul_lo_u32 v12, s0, v3
	v_add_u32_e32 v8, v11, v8
	v_add_u32_e32 v8, v8, v13
	v_mul_hi_u32 v11, v3, v12
	v_mul_lo_u32 v13, v3, v8
	v_mul_hi_u32 v15, v3, v8
	v_mul_hi_u32 v14, v4, v12
	v_mul_lo_u32 v12, v4, v12
	v_mul_hi_u32 v16, v4, v8
	v_add_co_u32_e32 v11, vcc, v11, v13
	v_addc_co_u32_e32 v13, vcc, 0, v15, vcc
	v_mul_lo_u32 v8, v4, v8
	v_add_co_u32_e32 v11, vcc, v11, v12
	v_addc_co_u32_e32 v11, vcc, v13, v14, vcc
	v_addc_co_u32_e32 v12, vcc, 0, v16, vcc
	v_add_co_u32_e32 v8, vcc, v11, v8
	v_addc_co_u32_e32 v11, vcc, 0, v12, vcc
	v_add_co_u32_e32 v3, vcc, v3, v8
	v_addc_co_u32_e32 v4, vcc, v4, v11, vcc
	v_mul_lo_u32 v8, s0, v4
	v_mul_hi_u32 v11, s0, v3
	v_mul_lo_u32 v12, s1, v3
	v_mul_lo_u32 v13, s0, v3
	v_add_u32_e32 v8, v11, v8
	v_add_u32_e32 v8, v8, v12
	v_mul_lo_u32 v14, v3, v8
	v_mul_hi_u32 v15, v3, v13
	v_mul_hi_u32 v16, v3, v8
	;; [unrolled: 1-line block ×3, first 2 shown]
	v_mul_lo_u32 v13, v4, v13
	v_mul_hi_u32 v11, v4, v8
	v_add_co_u32_e32 v14, vcc, v15, v14
	v_addc_co_u32_e32 v15, vcc, 0, v16, vcc
	v_mul_lo_u32 v8, v4, v8
	v_add_co_u32_e32 v13, vcc, v14, v13
	v_addc_co_u32_e32 v12, vcc, v15, v12, vcc
	v_addc_co_u32_e32 v11, vcc, 0, v11, vcc
	v_add_co_u32_e32 v8, vcc, v12, v8
	v_addc_co_u32_e32 v11, vcc, 0, v11, vcc
	v_add_co_u32_e32 v8, vcc, v3, v8
	v_addc_co_u32_e32 v11, vcc, v4, v11, vcc
	v_mad_u64_u32 v[3:4], s[0:1], v9, v11, 0
	v_mul_hi_u32 v12, v9, v8
	v_add_co_u32_e32 v13, vcc, v12, v3
	v_addc_co_u32_e32 v14, vcc, 0, v4, vcc
	v_mad_u64_u32 v[3:4], s[0:1], v10, v8, 0
	v_mad_u64_u32 v[11:12], s[0:1], v10, v11, 0
	v_add_co_u32_e32 v3, vcc, v13, v3
	v_addc_co_u32_e32 v3, vcc, v14, v4, vcc
	v_addc_co_u32_e32 v4, vcc, 0, v12, vcc
	v_add_co_u32_e32 v8, vcc, v3, v11
	v_addc_co_u32_e32 v11, vcc, 0, v4, vcc
	v_mul_lo_u32 v12, s29, v8
	v_mul_lo_u32 v13, s28, v11
	v_mad_u64_u32 v[3:4], s[0:1], s28, v8, 0
	v_add3_u32 v4, v4, v13, v12
	v_sub_u32_e32 v12, v10, v4
	v_mov_b32_e32 v13, s29
	v_sub_co_u32_e32 v3, vcc, v9, v3
	v_subb_co_u32_e64 v12, s[0:1], v12, v13, vcc
	v_subrev_co_u32_e64 v13, s[0:1], s28, v3
	v_subbrev_co_u32_e64 v12, s[0:1], 0, v12, s[0:1]
	v_cmp_le_u32_e64 s[0:1], s29, v12
	v_cndmask_b32_e64 v14, 0, -1, s[0:1]
	v_cmp_le_u32_e64 s[0:1], s28, v13
	v_cndmask_b32_e64 v13, 0, -1, s[0:1]
	v_cmp_eq_u32_e64 s[0:1], s29, v12
	v_cndmask_b32_e64 v12, v14, v13, s[0:1]
	v_add_co_u32_e64 v13, s[0:1], 2, v8
	v_addc_co_u32_e64 v14, s[0:1], 0, v11, s[0:1]
	v_add_co_u32_e64 v15, s[0:1], 1, v8
	v_addc_co_u32_e64 v16, s[0:1], 0, v11, s[0:1]
	v_subb_co_u32_e32 v4, vcc, v10, v4, vcc
	v_cmp_ne_u32_e64 s[0:1], 0, v12
	v_cmp_le_u32_e32 vcc, s29, v4
	v_cndmask_b32_e64 v12, v16, v14, s[0:1]
	v_cndmask_b32_e64 v14, 0, -1, vcc
	v_cmp_le_u32_e32 vcc, s28, v3
	v_cndmask_b32_e64 v3, 0, -1, vcc
	v_cmp_eq_u32_e32 vcc, s29, v4
	v_cndmask_b32_e32 v3, v14, v3, vcc
	v_cmp_ne_u32_e32 vcc, 0, v3
	v_cndmask_b32_e64 v3, v15, v13, s[0:1]
	v_cndmask_b32_e32 v4, v11, v12, vcc
	v_cndmask_b32_e32 v3, v8, v3, vcc
.LBB0_4:                                ;   in Loop: Header=BB0_2 Depth=1
	s_andn2_saveexec_b64 s[0:1], s[30:31]
	s_cbranch_execz .LBB0_6
; %bb.5:                                ;   in Loop: Header=BB0_2 Depth=1
	v_cvt_f32_u32_e32 v3, s28
	s_sub_i32 s30, 0, s28
	v_rcp_iflag_f32_e32 v3, v3
	v_mul_f32_e32 v3, 0x4f7ffffe, v3
	v_cvt_u32_f32_e32 v3, v3
	v_mul_lo_u32 v4, s30, v3
	v_mul_hi_u32 v4, v3, v4
	v_add_u32_e32 v3, v3, v4
	v_mul_hi_u32 v3, v9, v3
	v_mul_lo_u32 v4, v3, s28
	v_add_u32_e32 v8, 1, v3
	v_sub_u32_e32 v4, v9, v4
	v_subrev_u32_e32 v11, s28, v4
	v_cmp_le_u32_e32 vcc, s28, v4
	v_cndmask_b32_e32 v4, v4, v11, vcc
	v_cndmask_b32_e32 v3, v3, v8, vcc
	v_add_u32_e32 v8, 1, v3
	v_cmp_le_u32_e32 vcc, s28, v4
	v_cndmask_b32_e32 v3, v3, v8, vcc
	v_mov_b32_e32 v4, v7
.LBB0_6:                                ;   in Loop: Header=BB0_2 Depth=1
	s_or_b64 exec, exec, s[0:1]
	v_mul_lo_u32 v8, v4, s28
	v_mul_lo_u32 v13, v3, s29
	v_mad_u64_u32 v[11:12], s[0:1], v3, s28, 0
	s_load_dwordx2 s[0:1], s[22:23], 0x0
	s_load_dwordx2 s[28:29], s[6:7], 0x0
	v_add3_u32 v8, v12, v13, v8
	v_sub_co_u32_e32 v9, vcc, v9, v11
	v_subb_co_u32_e32 v8, vcc, v10, v8, vcc
	s_waitcnt lgkmcnt(0)
	v_mul_lo_u32 v10, s0, v8
	v_mul_lo_u32 v11, s1, v9
	v_mad_u64_u32 v[5:6], s[0:1], s0, v9, v[5:6]
	v_mul_lo_u32 v8, s28, v8
	v_mul_lo_u32 v12, s29, v9
	v_mad_u64_u32 v[1:2], s[0:1], s28, v9, v[1:2]
	s_add_u32 s26, s26, 1
	s_addc_u32 s27, s27, 0
	s_add_u32 s6, s6, 8
	v_add3_u32 v2, v12, v2, v8
	s_addc_u32 s7, s7, 0
	v_mov_b32_e32 v8, s14
	s_add_u32 s22, s22, 8
	v_mov_b32_e32 v9, s15
	s_addc_u32 s23, s23, 0
	v_cmp_ge_u64_e32 vcc, s[26:27], v[8:9]
	s_add_u32 s24, s24, 8
	v_add3_u32 v6, v11, v6, v10
	s_addc_u32 s25, s25, 0
	s_cbranch_vccnz .LBB0_9
; %bb.7:                                ;   in Loop: Header=BB0_2 Depth=1
	v_mov_b32_e32 v10, v4
	v_mov_b32_e32 v9, v3
	s_branch .LBB0_2
.LBB0_8:
	v_mov_b32_e32 v1, v5
	v_mov_b32_e32 v3, v9
	;; [unrolled: 1-line block ×4, first 2 shown]
.LBB0_9:
	s_load_dwordx2 s[0:1], s[4:5], 0x28
	s_lshl_b64 s[14:15], s[14:15], 3
	s_add_u32 s4, s18, s14
	s_addc_u32 s5, s19, s15
                                        ; implicit-def: $vgpr7
                                        ; implicit-def: $vgpr8
	s_waitcnt lgkmcnt(0)
	v_cmp_gt_u64_e32 vcc, s[0:1], v[3:4]
	v_cmp_le_u64_e64 s[0:1], s[0:1], v[3:4]
	s_and_saveexec_b64 s[6:7], s[0:1]
	s_xor_b64 s[0:1], exec, s[6:7]
; %bb.10:
	s_mov_b32 s6, 0x2d82d83
	v_mul_hi_u32 v5, v0, s6
	v_mul_u32_u24_e32 v5, 0x5a, v5
	v_sub_u32_e32 v7, v0, v5
	v_add_u32_e32 v8, 0x5a, v7
                                        ; implicit-def: $vgpr0
                                        ; implicit-def: $vgpr5_vgpr6
; %bb.11:
	s_or_saveexec_b64 s[6:7], s[0:1]
	s_load_dwordx2 s[4:5], s[4:5], 0x0
                                        ; implicit-def: $vgpr30
                                        ; implicit-def: $vgpr62
                                        ; implicit-def: $vgpr21
                                        ; implicit-def: $vgpr28
                                        ; implicit-def: $vgpr29
                                        ; implicit-def: $vgpr59
                                        ; implicit-def: $vgpr20
                                        ; implicit-def: $vgpr24
                                        ; implicit-def: $vgpr27
                                        ; implicit-def: $vgpr57
                                        ; implicit-def: $vgpr19
                                        ; implicit-def: $vgpr22
                                        ; implicit-def: $vgpr26
                                        ; implicit-def: $vgpr56
                                        ; implicit-def: $vgpr17
                                        ; implicit-def: $vgpr23
                                        ; implicit-def: $vgpr25
                                        ; implicit-def: $vgpr58
                                        ; implicit-def: $vgpr18
                                        ; implicit-def: $vgpr42
                                        ; implicit-def: $vgpr31
                                        ; implicit-def: $vgpr61
                                        ; implicit-def: $vgpr36
                                        ; implicit-def: $vgpr14
                                        ; implicit-def: $vgpr32
                                        ; implicit-def: $vgpr60
                                        ; implicit-def: $vgpr37
                                        ; implicit-def: $vgpr15
                                        ; implicit-def: $vgpr33
                                        ; implicit-def: $vgpr43
                                        ; implicit-def: $vgpr38
                                        ; implicit-def: $vgpr12
                                        ; implicit-def: $vgpr34
                                        ; implicit-def: $vgpr45
                                        ; implicit-def: $vgpr39
                                        ; implicit-def: $vgpr13
                                        ; implicit-def: $vgpr35
                                        ; implicit-def: $vgpr50
                                        ; implicit-def: $vgpr41
                                        ; implicit-def: $vgpr40
                                        ; implicit-def: $vgpr44
                                        ; implicit-def: $vgpr68
                                        ; implicit-def: $vgpr51
                                        ; implicit-def: $vgpr16
                                        ; implicit-def: $vgpr46
                                        ; implicit-def: $vgpr63
                                        ; implicit-def: $vgpr52
                                        ; implicit-def: $vgpr9
                                        ; implicit-def: $vgpr47
                                        ; implicit-def: $vgpr64
                                        ; implicit-def: $vgpr53
                                        ; implicit-def: $vgpr10
                                        ; implicit-def: $vgpr48
                                        ; implicit-def: $vgpr65
                                        ; implicit-def: $vgpr54
                                        ; implicit-def: $vgpr11
                                        ; implicit-def: $vgpr49
                                        ; implicit-def: $vgpr66
                                        ; implicit-def: $vgpr55
                                        ; implicit-def: $vgpr67
	s_xor_b64 exec, exec, s[6:7]
	s_cbranch_execz .LBB0_15
; %bb.12:
	s_add_u32 s0, s16, s14
	s_mov_b32 s14, 0x2d82d83
	v_mul_hi_u32 v7, v0, s14
	s_addc_u32 s1, s17, s15
	s_load_dwordx2 s[0:1], s[0:1], 0x0
	v_lshlrev_b64 v[5:6], 2, v[5:6]
	v_mul_u32_u24_e32 v7, 0x5a, v7
	v_sub_u32_e32 v7, v0, v7
	v_mad_u64_u32 v[8:9], s[14:15], s2, v7, 0
	s_waitcnt lgkmcnt(0)
	v_mul_lo_u32 v14, s1, v3
	v_mul_lo_u32 v15, s0, v4
	v_mad_u64_u32 v[10:11], s[0:1], s0, v3, 0
	v_mov_b32_e32 v0, v9
	v_mad_u64_u32 v[12:13], s[0:1], s3, v7, v[0:1]
	v_add3_u32 v11, v11, v15, v14
	v_lshlrev_b64 v[10:11], 2, v[10:11]
	v_mov_b32_e32 v9, v12
	v_mov_b32_e32 v0, s9
	v_add_co_u32_e64 v12, s[0:1], s8, v10
	v_add_u32_e32 v14, 0xe1, v7
	v_addc_co_u32_e64 v13, s[0:1], v0, v11, s[0:1]
	v_mad_u64_u32 v[10:11], s[0:1], s2, v14, 0
	v_add_co_u32_e64 v0, s[0:1], v12, v5
	v_addc_co_u32_e64 v5, s[0:1], v13, v6, s[0:1]
	v_mov_b32_e32 v6, v11
	v_mad_u64_u32 v[11:12], s[0:1], s3, v14, v[6:7]
	v_add_u32_e32 v16, 0x1c2, v7
	v_mad_u64_u32 v[12:13], s[0:1], s2, v16, 0
	v_lshlrev_b64 v[8:9], 2, v[8:9]
	v_add_u32_e32 v32, 0x7e9, v7
	v_add_co_u32_e64 v14, s[0:1], v0, v8
	v_mov_b32_e32 v6, v13
	v_addc_co_u32_e64 v15, s[0:1], v5, v9, s[0:1]
	v_lshlrev_b64 v[8:9], 2, v[10:11]
	v_mad_u64_u32 v[10:11], s[0:1], s3, v16, v[6:7]
	v_add_u32_e32 v11, 0x2a3, v7
	v_mad_u64_u32 v[16:17], s[0:1], s2, v11, 0
	v_add_co_u32_e64 v18, s[0:1], v0, v8
	v_mov_b32_e32 v13, v10
	v_mov_b32_e32 v6, v17
	v_addc_co_u32_e64 v19, s[0:1], v5, v9, s[0:1]
	v_lshlrev_b64 v[8:9], 2, v[12:13]
	v_mad_u64_u32 v[10:11], s[0:1], s3, v11, v[6:7]
	v_add_u32_e32 v13, 0x384, v7
	v_mad_u64_u32 v[11:12], s[0:1], s2, v13, 0
	v_add_co_u32_e64 v20, s[0:1], v0, v8
	v_mov_b32_e32 v17, v10
	v_add_u32_e32 v10, 0x465, v7
	v_addc_co_u32_e64 v21, s[0:1], v5, v9, s[0:1]
	v_lshlrev_b64 v[8:9], 2, v[16:17]
	v_mov_b32_e32 v6, v12
	v_mad_u64_u32 v[16:17], s[0:1], s2, v10, 0
	v_mad_u64_u32 v[12:13], s[0:1], s3, v13, v[6:7]
	v_add_co_u32_e64 v22, s[0:1], v0, v8
	v_mov_b32_e32 v6, v17
	v_addc_co_u32_e64 v23, s[0:1], v5, v9, s[0:1]
	v_lshlrev_b64 v[8:9], 2, v[11:12]
	v_mad_u64_u32 v[10:11], s[0:1], s3, v10, v[6:7]
	v_add_u32_e32 v13, 0x546, v7
	v_mad_u64_u32 v[11:12], s[0:1], s2, v13, 0
	v_add_co_u32_e64 v24, s[0:1], v0, v8
	v_mov_b32_e32 v17, v10
	v_add_u32_e32 v10, 0x627, v7
	v_addc_co_u32_e64 v25, s[0:1], v5, v9, s[0:1]
	v_lshlrev_b64 v[8:9], 2, v[16:17]
	v_mov_b32_e32 v6, v12
	v_mad_u64_u32 v[16:17], s[0:1], s2, v10, 0
	v_mad_u64_u32 v[12:13], s[0:1], s3, v13, v[6:7]
	v_add_co_u32_e64 v26, s[0:1], v0, v8
	v_mov_b32_e32 v6, v17
	v_addc_co_u32_e64 v27, s[0:1], v5, v9, s[0:1]
	v_lshlrev_b64 v[8:9], 2, v[11:12]
	v_mad_u64_u32 v[10:11], s[0:1], s3, v10, v[6:7]
	v_add_co_u32_e64 v12, s[0:1], v0, v8
	v_mov_b32_e32 v17, v10
	v_add_u32_e32 v10, 0x708, v7
	v_addc_co_u32_e64 v13, s[0:1], v5, v9, s[0:1]
	v_lshlrev_b64 v[8:9], 2, v[16:17]
	v_mad_u64_u32 v[16:17], s[0:1], s2, v10, 0
	v_add_co_u32_e64 v28, s[0:1], v0, v8
	v_addc_co_u32_e64 v29, s[0:1], v5, v9, s[0:1]
	v_mov_b32_e32 v6, v17
	v_mad_u64_u32 v[30:31], s[0:1], s2, v32, 0
	v_mad_u64_u32 v[8:9], s[0:1], s3, v10, v[6:7]
	v_mov_b32_e32 v6, v31
	global_load_dword v67, v[14:15], off
	global_load_dword v66, v[18:19], off
	;; [unrolled: 1-line block ×8, first 2 shown]
	v_mov_b32_e32 v17, v8
	v_mad_u64_u32 v[14:15], s[0:1], s3, v32, v[6:7]
	v_add_u32_e32 v8, 0x5a, v7
	v_lshlrev_b64 v[12:13], 2, v[16:17]
	v_mad_u64_u32 v[15:16], s[0:1], s2, v8, 0
	v_add_co_u32_e64 v17, s[0:1], v0, v12
	v_mov_b32_e32 v6, v16
	v_addc_co_u32_e64 v18, s[0:1], v5, v13, s[0:1]
	v_mov_b32_e32 v31, v14
	v_mad_u64_u32 v[19:20], s[0:1], s3, v8, v[6:7]
	v_add_u32_e32 v14, 0x13b, v7
	v_mad_u64_u32 v[20:21], s[0:1], s2, v14, 0
	v_lshlrev_b64 v[12:13], 2, v[30:31]
	v_mov_b32_e32 v16, v19
	v_add_co_u32_e64 v22, s[0:1], v0, v12
	v_mov_b32_e32 v6, v21
	v_addc_co_u32_e64 v23, s[0:1], v5, v13, s[0:1]
	v_lshlrev_b64 v[12:13], 2, v[15:16]
	v_mad_u64_u32 v[14:15], s[0:1], s3, v14, v[6:7]
	v_add_u32_e32 v19, 0x21c, v7
	v_mad_u64_u32 v[15:16], s[0:1], s2, v19, 0
	v_add_co_u32_e64 v24, s[0:1], v0, v12
	v_mov_b32_e32 v21, v14
	v_mov_b32_e32 v6, v16
	v_addc_co_u32_e64 v25, s[0:1], v5, v13, s[0:1]
	v_lshlrev_b64 v[12:13], 2, v[20:21]
	v_mad_u64_u32 v[19:20], s[0:1], s3, v19, v[6:7]
	v_add_u32_e32 v14, 0x2fd, v7
	v_mad_u64_u32 v[20:21], s[0:1], s2, v14, 0
	v_add_co_u32_e64 v26, s[0:1], v0, v12
	v_mov_b32_e32 v16, v19
	;; [unrolled: 8-line block ×4, first 2 shown]
	v_mov_b32_e32 v6, v21
	v_addc_co_u32_e64 v31, s[0:1], v5, v13, s[0:1]
	v_lshlrev_b64 v[12:13], 2, v[15:16]
	v_mad_u64_u32 v[14:15], s[0:1], s3, v14, v[6:7]
	v_add_co_u32_e64 v32, s[0:1], v0, v12
	v_mov_b32_e32 v21, v14
	v_addc_co_u32_e64 v33, s[0:1], v5, v13, s[0:1]
	v_lshlrev_b64 v[12:13], 2, v[20:21]
	v_add_u32_e32 v16, 0x5a0, v7
	v_mad_u64_u32 v[14:15], s[0:1], s2, v16, 0
	v_add_co_u32_e64 v19, s[0:1], v0, v12
	v_add_u32_e32 v21, 0x681, v7
	v_addc_co_u32_e64 v20, s[0:1], v5, v13, s[0:1]
	v_mad_u64_u32 v[34:35], s[0:1], s2, v21, 0
	v_mov_b32_e32 v6, v15
	v_mad_u64_u32 v[15:16], s[0:1], s3, v16, v[6:7]
	v_mov_b32_e32 v6, v35
	global_load_dword v16, v[17:18], off
	global_load_dword v68, v[22:23], off
	;; [unrolled: 1-line block ×8, first 2 shown]
	v_mad_u64_u32 v[17:18], s[0:1], s3, v21, v[6:7]
	v_add_u32_e32 v22, 0x762, v7
	v_mad_u64_u32 v[18:19], s[0:1], s2, v22, 0
	v_lshlrev_b64 v[14:15], 2, v[14:15]
	v_mov_b32_e32 v35, v17
	v_add_co_u32_e64 v20, s[0:1], v0, v14
	v_mov_b32_e32 v6, v19
	v_addc_co_u32_e64 v21, s[0:1], v5, v15, s[0:1]
	v_mad_u64_u32 v[22:23], s[0:1], s3, v22, v[6:7]
	v_add_u32_e32 v17, 0x843, v7
	v_mad_u64_u32 v[23:24], s[0:1], s2, v17, 0
	v_lshlrev_b64 v[14:15], 2, v[34:35]
	v_mov_b32_e32 v19, v22
	v_add_co_u32_e64 v25, s[0:1], v0, v14
	v_mov_b32_e32 v6, v24
	v_addc_co_u32_e64 v26, s[0:1], v5, v15, s[0:1]
	v_lshlrev_b64 v[14:15], 2, v[18:19]
	v_mad_u64_u32 v[17:18], s[0:1], s3, v17, v[6:7]
	v_add_co_u32_e64 v18, s[0:1], v0, v14
	v_mov_b32_e32 v24, v17
	v_addc_co_u32_e64 v19, s[0:1], v5, v15, s[0:1]
	v_lshlrev_b64 v[14:15], 2, v[23:24]
                                        ; implicit-def: $vgpr42
                                        ; implicit-def: $vgpr58
                                        ; implicit-def: $vgpr17
                                        ; implicit-def: $vgpr56
                                        ; implicit-def: $vgpr57
                                        ; implicit-def: $vgpr27
                                        ; implicit-def: $vgpr24
                                        ; implicit-def: $vgpr59
                                        ; implicit-def: $vgpr29
                                        ; implicit-def: $vgpr28
                                        ; implicit-def: $vgpr62
                                        ; implicit-def: $vgpr30
	v_add_co_u32_e64 v22, s[0:1], v0, v14
	v_addc_co_u32_e64 v23, s[0:1], v5, v15, s[0:1]
	global_load_dword v15, v[20:21], off
	global_load_dword v60, v[25:26], off
	;; [unrolled: 1-line block ×4, first 2 shown]
	v_cmp_gt_u32_e64 s[0:1], 45, v7
                                        ; implicit-def: $vgpr18
                                        ; implicit-def: $vgpr25
                                        ; implicit-def: $vgpr23
                                        ; implicit-def: $vgpr26
                                        ; implicit-def: $vgpr22
                                        ; implicit-def: $vgpr19
                                        ; implicit-def: $vgpr20
                                        ; implicit-def: $vgpr21
	s_and_saveexec_b64 s[8:9], s[0:1]
	s_cbranch_execz .LBB0_14
; %bb.13:
	v_add_u32_e32 v21, 0xb4, v7
	v_mad_u64_u32 v[17:18], s[0:1], s2, v21, 0
	v_add_u32_e32 v23, 0x195, v7
	v_mad_u64_u32 v[19:20], s[0:1], s2, v23, 0
	v_mov_b32_e32 v6, v18
	v_mad_u64_u32 v[21:22], s[0:1], s3, v21, v[6:7]
	v_mov_b32_e32 v6, v20
	v_add_u32_e32 v25, 0x357, v7
	v_mov_b32_e32 v18, v21
	v_mad_u64_u32 v[20:21], s[0:1], s3, v23, v[6:7]
	v_add_u32_e32 v23, 0x276, v7
	v_mad_u64_u32 v[21:22], s[0:1], s2, v23, 0
	v_lshlrev_b64 v[17:18], 2, v[17:18]
	v_lshlrev_b64 v[19:20], 2, v[19:20]
	v_add_co_u32_e64 v17, s[0:1], v0, v17
	v_mov_b32_e32 v6, v22
	v_addc_co_u32_e64 v18, s[0:1], v5, v18, s[0:1]
	v_mad_u64_u32 v[22:23], s[0:1], s3, v23, v[6:7]
	v_mad_u64_u32 v[23:24], s[0:1], s2, v25, 0
	v_add_co_u32_e64 v19, s[0:1], v0, v19
	v_mov_b32_e32 v6, v24
	v_addc_co_u32_e64 v20, s[0:1], v5, v20, s[0:1]
	v_mad_u64_u32 v[24:25], s[0:1], s3, v25, v[6:7]
	v_add_u32_e32 v29, 0x438, v7
	v_mad_u64_u32 v[25:26], s[0:1], s2, v29, 0
	v_lshlrev_b64 v[21:22], 2, v[21:22]
	v_add_u32_e32 v39, 0x89d, v7
	v_add_co_u32_e64 v27, s[0:1], v0, v21
	v_mov_b32_e32 v6, v26
	v_addc_co_u32_e64 v28, s[0:1], v5, v22, s[0:1]
	v_lshlrev_b64 v[21:22], 2, v[23:24]
	v_mad_u64_u32 v[23:24], s[0:1], s3, v29, v[6:7]
	v_add_u32_e32 v24, 0x519, v7
	v_mad_u64_u32 v[29:30], s[0:1], s2, v24, 0
	v_add_co_u32_e64 v31, s[0:1], v0, v21
	v_mov_b32_e32 v26, v23
	v_mov_b32_e32 v6, v30
	v_addc_co_u32_e64 v32, s[0:1], v5, v22, s[0:1]
	v_lshlrev_b64 v[21:22], 2, v[25:26]
	v_mad_u64_u32 v[23:24], s[0:1], s3, v24, v[6:7]
	v_add_u32_e32 v26, 0x5fa, v7
	v_mad_u64_u32 v[24:25], s[0:1], s2, v26, 0
	v_add_co_u32_e64 v33, s[0:1], v0, v21
	v_mov_b32_e32 v30, v23
	v_add_u32_e32 v23, 0x6db, v7
	v_addc_co_u32_e64 v34, s[0:1], v5, v22, s[0:1]
	v_lshlrev_b64 v[21:22], 2, v[29:30]
	v_mov_b32_e32 v6, v25
	v_mad_u64_u32 v[29:30], s[0:1], s2, v23, 0
	v_mad_u64_u32 v[25:26], s[0:1], s3, v26, v[6:7]
	v_add_co_u32_e64 v35, s[0:1], v0, v21
	v_mov_b32_e32 v6, v30
	v_addc_co_u32_e64 v36, s[0:1], v5, v22, s[0:1]
	v_lshlrev_b64 v[21:22], 2, v[24:25]
	v_mad_u64_u32 v[23:24], s[0:1], s3, v23, v[6:7]
	v_add_co_u32_e64 v25, s[0:1], v0, v21
	v_mov_b32_e32 v30, v23
	v_addc_co_u32_e64 v26, s[0:1], v5, v22, s[0:1]
	v_lshlrev_b64 v[21:22], 2, v[29:30]
	v_add_u32_e32 v23, 0x7bc, v7
	v_mad_u64_u32 v[29:30], s[0:1], s2, v23, 0
	v_add_co_u32_e64 v37, s[0:1], v0, v21
	v_addc_co_u32_e64 v38, s[0:1], v5, v22, s[0:1]
	v_mad_u64_u32 v[46:47], s[0:1], s2, v39, 0
	v_mov_b32_e32 v6, v30
	v_mad_u64_u32 v[21:22], s[0:1], s3, v23, v[6:7]
	v_mov_b32_e32 v6, v47
	global_load_dword v42, v[17:18], off
	global_load_dword v58, v[19:20], off
	;; [unrolled: 1-line block ×8, first 2 shown]
	v_mad_u64_u32 v[19:20], s[0:1], s3, v39, v[6:7]
	v_mov_b32_e32 v30, v21
	v_lshlrev_b64 v[17:18], 2, v[29:30]
	v_mov_b32_e32 v47, v19
	v_add_co_u32_e64 v17, s[0:1], v0, v17
	v_lshlrev_b64 v[19:20], 2, v[46:47]
	v_addc_co_u32_e64 v18, s[0:1], v5, v18, s[0:1]
	v_add_co_u32_e64 v19, s[0:1], v0, v19
	v_addc_co_u32_e64 v20, s[0:1], v5, v20, s[0:1]
	global_load_dword v28, v[17:18], off
	global_load_dword v62, v[19:20], off
	s_waitcnt vmcnt(9)
	v_lshrrev_b32_e32 v18, 16, v42
	s_waitcnt vmcnt(8)
	v_lshrrev_b32_e32 v25, 16, v58
	;; [unrolled: 2-line block ×10, first 2 shown]
.LBB0_14:
	s_or_b64 exec, exec, s[8:9]
	s_waitcnt vmcnt(19)
	v_lshrrev_b32_e32 v55, 16, v67
	s_waitcnt vmcnt(18)
	v_lshrrev_b32_e32 v49, 16, v66
	;; [unrolled: 2-line block ×20, first 2 shown]
.LBB0_15:
	s_or_b64 exec, exec, s[6:7]
	v_add_f16_e32 v5, v9, v10
	v_fma_f16 v5, v5, -0.5, v67
	v_sub_f16_e32 v6, v54, v51
	s_mov_b32 s8, 0xbb9c
	s_movk_i32 s9, 0x3b9c
	v_fma_f16 v69, v6, s8, v5
	v_sub_f16_e32 v70, v53, v52
	s_mov_b32 s6, 0xb8b4
	v_sub_f16_e32 v71, v11, v10
	v_sub_f16_e32 v72, v16, v9
	v_fma_f16 v5, v6, s9, v5
	s_movk_i32 s14, 0x38b4
	v_fma_f16 v69, v70, s6, v69
	v_add_f16_e32 v71, v72, v71
	s_movk_i32 s7, 0x34f2
	v_fma_f16 v5, v70, s14, v5
	v_fma_f16 v69, v71, s7, v69
	;; [unrolled: 1-line block ×3, first 2 shown]
	v_add_f16_e32 v5, v16, v11
	v_fma_f16 v5, v5, -0.5, v67
	v_add_f16_e32 v0, v11, v67
	v_fma_f16 v67, v70, s9, v5
	v_sub_f16_e32 v72, v10, v11
	v_sub_f16_e32 v73, v9, v16
	v_fma_f16 v5, v70, s8, v5
	v_add_f16_e32 v72, v73, v72
	v_fma_f16 v5, v6, s14, v5
	v_fma_f16 v70, v72, s7, v5
	v_add_f16_e32 v5, v65, v66
	v_add_f16_e32 v5, v64, v5
	v_fma_f16 v67, v6, s6, v67
	v_add_f16_e32 v5, v63, v5
	v_fma_f16 v73, v72, s7, v67
	v_add_f16_e32 v72, v68, v5
	v_add_f16_e32 v5, v63, v64
	v_fma_f16 v5, v5, -0.5, v66
	v_sub_f16_e32 v74, v48, v44
	v_fma_f16 v6, v74, s8, v5
	v_sub_f16_e32 v75, v47, v46
	v_sub_f16_e32 v67, v65, v64
	;; [unrolled: 1-line block ×3, first 2 shown]
	v_fma_f16 v5, v74, s9, v5
	v_fma_f16 v6, v75, s6, v6
	v_add_f16_e32 v67, v76, v67
	v_fma_f16 v5, v75, s14, v5
	v_fma_f16 v6, v67, s7, v6
	;; [unrolled: 1-line block ×3, first 2 shown]
	v_add_f16_e32 v67, v68, v65
	v_fma_f16 v66, v67, -0.5, v66
	v_fma_f16 v67, v75, s9, v66
	v_fma_f16 v66, v75, s8, v66
	;; [unrolled: 1-line block ×4, first 2 shown]
	v_add_f16_e32 v74, v46, v47
	v_sub_f16_e32 v77, v63, v68
	v_fma_f16 v74, v74, -0.5, v49
	v_sub_f16_e32 v68, v65, v68
	v_sub_f16_e32 v76, v64, v65
	v_fma_f16 v65, v68, s9, v74
	v_sub_f16_e32 v75, v64, v63
	v_fma_f16 v63, v75, s14, v65
	v_sub_f16_e32 v64, v48, v47
	v_sub_f16_e32 v65, v44, v46
	v_add_f16_e32 v65, v65, v64
	v_fma_f16 v64, v65, s7, v63
	v_fma_f16 v63, v68, s8, v74
	v_fma_f16 v63, v75, s6, v63
	v_fma_f16 v63, v65, s7, v63
	v_add_f16_e32 v65, v44, v48
	v_add_f16_e32 v76, v77, v76
	v_fma_f16 v74, v65, -0.5, v49
	v_fma_f16 v67, v76, s7, v67
	v_fma_f16 v66, v76, s7, v66
	;; [unrolled: 1-line block ×3, first 2 shown]
	v_sub_f16_e32 v76, v47, v48
	v_sub_f16_e32 v77, v46, v44
	v_fma_f16 v65, v68, s14, v65
	v_add_f16_e32 v76, v77, v76
	v_fma_f16 v74, v75, s9, v74
	v_mul_f16_e32 v75, 0xb8b4, v64
	s_movk_i32 s0, 0x3a79
	v_fma_f16 v65, v76, s7, v65
	v_fma_f16 v68, v68, s6, v74
	;; [unrolled: 1-line block ×3, first 2 shown]
	v_add_f16_e32 v0, v10, v0
	v_fma_f16 v68, v76, s7, v68
	v_add_f16_e32 v76, v69, v75
	v_mul_f16_e32 v77, 0xbb9c, v65
	v_sub_f16_e32 v75, v69, v75
	v_mul_f16_e32 v69, 0xb8b4, v63
	s_mov_b32 s1, 0xba79
	v_add_f16_e32 v0, v9, v0
	v_fma_f16 v77, v67, s7, v77
	v_mul_f16_e32 v79, 0xbb9c, v68
	s_mov_b32 s15, 0xb4f2
	v_fma_f16 v69, v5, s1, v69
	v_add_f16_e32 v0, v16, v0
	v_add_f16_e32 v78, v73, v77
	v_fma_f16 v79, v66, s15, v79
	v_sub_f16_e32 v73, v73, v77
	v_add_f16_e32 v77, v71, v69
	v_sub_f16_e32 v71, v71, v69
	v_add_f16_e32 v69, v15, v12
	v_add_f16_e32 v74, v72, v0
	v_sub_f16_e32 v0, v0, v72
	v_add_f16_e32 v72, v70, v79
	v_sub_f16_e32 v70, v70, v79
	v_fma_f16 v79, v69, -0.5, v40
	v_mul_u32_u24_e32 v69, 10, v7
	v_pack_b32_f16 v72, v78, v72
	v_pack_b32_f16 v74, v74, v76
	v_lshl_add_u32 v69, v69, 1, 0
	v_sub_f16_e32 v80, v39, v36
	ds_write2_b32 v69, v74, v72 offset1:1
	v_sub_f16_e32 v72, v13, v12
	v_sub_f16_e32 v74, v14, v15
	v_fma_f16 v78, v80, s8, v79
	v_add_f16_e32 v72, v74, v72
	v_sub_f16_e32 v74, v38, v37
	v_fma_f16 v76, v74, s6, v78
	v_fma_f16 v78, v80, s9, v79
	;; [unrolled: 1-line block ×5, first 2 shown]
	v_sub_f16_e32 v78, v12, v13
	v_sub_f16_e32 v79, v15, v14
	v_add_f16_e32 v78, v79, v78
	v_add_f16_e32 v79, v14, v13
	v_fma_f16 v79, v79, -0.5, v40
	v_fma_f16 v81, v74, s9, v79
	v_fma_f16 v74, v74, s8, v79
	;; [unrolled: 1-line block ×6, first 2 shown]
	v_sub_f16_e32 v78, v45, v43
	v_sub_f16_e32 v80, v61, v60
	v_add_f16_e32 v78, v80, v78
	v_add_f16_e32 v80, v60, v43
	v_fma_f16 v80, v80, -0.5, v50
	v_sub_f16_e32 v81, v34, v31
	v_fma_f16 v82, v81, s8, v80
	v_sub_f16_e32 v85, v33, v32
	v_fma_f16 v80, v81, s9, v80
	v_fma_f16 v82, v85, s6, v82
	;; [unrolled: 1-line block ×5, first 2 shown]
	v_sub_f16_e32 v78, v43, v45
	v_sub_f16_e32 v80, v60, v61
	v_add_f16_e32 v78, v80, v78
	v_add_f16_e32 v80, v61, v45
	v_fma_f16 v80, v80, -0.5, v50
	v_add_f16_e32 v50, v45, v50
	v_add_f16_e32 v50, v43, v50
	;; [unrolled: 1-line block ×4, first 2 shown]
	v_sub_f16_e32 v45, v45, v61
	v_sub_f16_e32 v43, v43, v60
	v_pack_b32_f16 v60, v75, v73
	v_pack_b32_f16 v0, v77, v0
	v_add_f16_e32 v61, v32, v33
	v_fma_f16 v61, v61, -0.5, v35
	ds_write2_b32 v69, v0, v60 offset0:2 offset1:3
	v_sub_f16_e32 v0, v34, v33
	v_sub_f16_e32 v60, v31, v32
	v_add_f16_e32 v0, v60, v0
	v_fma_f16 v60, v45, s9, v61
	v_fma_f16 v60, v43, s14, v60
	;; [unrolled: 1-line block ×6, first 2 shown]
	v_sub_f16_e32 v0, v33, v34
	v_sub_f16_e32 v60, v32, v31
	v_add_f16_e32 v0, v60, v0
	v_add_f16_e32 v60, v31, v34
	v_fma_f16 v60, v60, -0.5, v35
	v_add_f16_e32 v40, v13, v40
	v_fma_f16 v61, v43, s8, v60
	v_add_f16_e32 v40, v12, v40
	v_fma_f16 v82, v85, s9, v80
	v_fma_f16 v43, v43, s9, v60
	;; [unrolled: 1-line block ×3, first 2 shown]
	v_add_f16_e32 v40, v15, v40
	v_fma_f16 v82, v81, s6, v82
	v_fma_f16 v43, v45, s6, v43
	v_add_f16_e32 v40, v14, v40
	v_fma_f16 v93, v0, s7, v60
	v_fma_f16 v80, v85, s8, v80
	;; [unrolled: 1-line block ×4, first 2 shown]
	v_add_f16_e32 v0, v50, v40
	v_sub_f16_e32 v40, v40, v50
	v_mul_f16_e32 v50, 0xbb9c, v93
	v_fma_f16 v80, v81, s14, v80
	v_fma_f16 v50, v88, s7, v50
	;; [unrolled: 1-line block ×3, first 2 shown]
	v_add_f16_e32 v60, v79, v50
	v_sub_f16_e32 v73, v79, v50
	v_mul_f16_e32 v50, 0xbb9c, v92
	v_mul_f16_e32 v43, 0xb8b4, v91
	v_fma_f16 v50, v87, s15, v50
	v_fma_f16 v43, v84, s0, v43
	v_add_f16_e32 v61, v74, v50
	v_sub_f16_e32 v74, v74, v50
	v_mul_f16_e32 v50, 0xb8b4, v90
	v_add_f16_e32 v45, v76, v43
	v_fma_f16 v50, v83, s1, v50
	v_add_f16_e32 v75, v72, v50
	v_sub_f16_e32 v72, v72, v50
	v_pack_b32_f16 v50, v70, v71
	v_pack_b32_f16 v0, v0, v45
	v_mul_i32_i24_e32 v45, 10, v8
	ds_write_b32 v69, v50 offset:16
	v_pack_b32_f16 v50, v60, v61
	v_lshl_add_u32 v89, v45, 1, 0
	ds_write2_b32 v89, v0, v50 offset1:1
	v_sub_f16_e32 v0, v23, v22
	v_sub_f16_e32 v45, v28, v24
	;; [unrolled: 1-line block ×3, first 2 shown]
	v_add_f16_e32 v45, v45, v0
	v_add_f16_e32 v0, v24, v22
	v_fma_f16 v61, v0, -0.5, v42
	v_sub_f16_e32 v50, v17, v21
	v_pack_b32_f16 v43, v43, v73
	v_pack_b32_f16 v40, v75, v40
	v_fma_f16 v0, v50, s8, v61
	v_sub_f16_e32 v60, v19, v20
	v_fma_f16 v61, v50, s9, v61
	ds_write2_b32 v89, v40, v43 offset0:2 offset1:3
	v_sub_f16_e32 v40, v56, v57
	v_sub_f16_e32 v43, v62, v59
	v_fma_f16 v0, v60, s6, v0
	v_fma_f16 v61, v60, s14, v61
	v_add_f16_e32 v40, v43, v40
	v_add_f16_e32 v43, v59, v57
	v_fma_f16 v0, v45, s7, v0
	v_fma_f16 v61, v45, s7, v61
	v_fma_f16 v43, v43, -0.5, v58
	v_sub_f16_e32 v45, v26, v30
	v_fma_f16 v70, v45, s8, v43
	v_sub_f16_e32 v71, v27, v29
	v_fma_f16 v43, v45, s9, v43
	v_fma_f16 v70, v71, s6, v70
	v_fma_f16 v43, v71, s14, v43
	v_fma_f16 v98, v40, s7, v70
	v_fma_f16 v99, v40, s7, v43
	v_sub_f16_e32 v40, v57, v56
	v_sub_f16_e32 v43, v59, v62
	v_add_f16_e32 v40, v43, v40
	v_add_f16_e32 v43, v62, v56
	v_fma_f16 v43, v43, -0.5, v58
	v_fma_f16 v70, v71, s9, v43
	v_fma_f16 v43, v71, s8, v43
	;; [unrolled: 1-line block ×6, first 2 shown]
	v_add_f16_e32 v40, v56, v58
	v_add_f16_e32 v40, v57, v40
	;; [unrolled: 1-line block ×4, first 2 shown]
	v_sub_f16_e32 v40, v56, v62
	v_sub_f16_e32 v45, v26, v27
	;; [unrolled: 1-line block ×3, first 2 shown]
	v_add_f16_e32 v45, v56, v45
	v_add_f16_e32 v56, v29, v27
	v_fma_f16 v56, v56, -0.5, v25
	v_sub_f16_e32 v43, v57, v59
	v_fma_f16 v57, v40, s9, v56
	v_fma_f16 v56, v40, s8, v56
	;; [unrolled: 1-line block ×6, first 2 shown]
	v_sub_f16_e32 v45, v27, v26
	v_sub_f16_e32 v56, v29, v30
	v_add_f16_e32 v45, v56, v45
	v_add_f16_e32 v56, v30, v26
	v_fma_f16 v56, v56, -0.5, v25
	v_fma_f16 v57, v43, s8, v56
	v_fma_f16 v43, v43, s9, v56
	;; [unrolled: 1-line block ×5, first 2 shown]
	v_pack_b32_f16 v40, v74, v72
	ds_write_b32 v89, v40 offset:16
	v_add_f16_e32 v40, v23, v42
	v_add_f16_e32 v40, v22, v40
	;; [unrolled: 1-line block ×3, first 2 shown]
	v_fma_f16 v97, v45, s7, v56
	v_add_f16_e32 v56, v28, v40
	v_mul_f16_e32 v40, 0xb8b4, v100
	v_fma_f16 v57, v98, s0, v40
	v_mul_f16_e32 v40, 0xb8b4, v101
	v_fma_f16 v59, v99, s1, v40
	v_cmp_gt_u32_e64 s[2:3], 45, v7
	v_add_f16_e32 v40, v61, v59
	v_sub_f16_e32 v45, v56, v58
	v_sub_f16_e32 v43, v0, v57
	s_and_saveexec_b64 s[0:1], s[2:3]
	s_cbranch_execz .LBB0_17
; %bb.16:
	v_sub_f16_e32 v59, v61, v59
	v_sub_f16_e32 v61, v22, v23
	;; [unrolled: 1-line block ×3, first 2 shown]
	v_add_f16_e32 v61, v62, v61
	v_add_f16_e32 v62, v28, v23
	v_fma_f16 v42, v62, -0.5, v42
	v_fma_f16 v62, v60, s8, v42
	v_fma_f16 v42, v60, s9, v42
	;; [unrolled: 1-line block ×3, first 2 shown]
	v_mul_f16_e32 v70, 0xbb9c, v96
	v_fma_f16 v42, v50, s6, v42
	v_mul_f16_e32 v50, 0xbb9c, v97
	v_fma_f16 v62, v61, s7, v62
	v_fma_f16 v70, v94, s15, v70
	;; [unrolled: 1-line block ×4, first 2 shown]
	v_sub_f16_e32 v60, v42, v50
	v_add_f16_e32 v61, v62, v70
	v_add_f16_e32 v42, v42, v50
	;; [unrolled: 1-line block ×4, first 2 shown]
	v_add_u32_e32 v56, 0xe10, v69
	v_pack_b32_f16 v42, v42, v61
	v_pack_b32_f16 v0, v50, v0
	s_mov_b32 s6, 0x5040100
	v_sub_f16_e32 v71, v62, v70
	ds_write2_b32 v56, v0, v42 offset1:1
	v_add_u32_e32 v0, 0xe18, v69
	v_perm_b32 v42, v45, v40, s6
	v_perm_b32 v50, v60, v43, s6
	ds_write2_b32 v0, v42, v50 offset1:1
	v_pack_b32_f16 v0, v71, v59
	ds_write_b32 v69, v0 offset:3616
.LBB0_17:
	s_or_b64 exec, exec, s[0:1]
	s_movk_i32 s0, 0xffee
	v_mad_i32_i24 v0, v7, s0, v69
	v_mad_i32_i24 v61, v8, s0, v89
	s_waitcnt lgkmcnt(0)
	s_barrier
	ds_read_u16 v60, v0
	ds_read_u16 v59, v0 offset:360
	ds_read_u16 v58, v0 offset:540
	;; [unrolled: 1-line block ×21, first 2 shown]
	ds_read_u16 v61, v61
	ds_read_u16 v62, v0 offset:4260
	v_cmp_gt_u32_e64 s[0:1], 30, v7
	s_and_saveexec_b64 s[6:7], s[0:1]
	s_cbranch_execz .LBB0_19
; %bb.18:
	ds_read_u16 v40, v0 offset:1440
	ds_read_u16 v45, v0 offset:2940
	;; [unrolled: 1-line block ×3, first 2 shown]
.LBB0_19:
	s_or_b64 exec, exec, s[6:7]
	v_add_f16_e32 v104, v52, v53
	v_fma_f16 v104, v104, -0.5, v55
	v_sub_f16_e32 v11, v11, v16
	s_movk_i32 s8, 0x3b9c
	v_fma_f16 v16, v11, s8, v104
	v_sub_f16_e32 v9, v10, v9
	s_mov_b32 s16, 0xbb9c
	v_fma_f16 v10, v9, s14, v16
	v_sub_f16_e32 v16, v54, v53
	v_sub_f16_e32 v105, v51, v52
	v_fma_f16 v104, v11, s16, v104
	s_mov_b32 s15, 0xb8b4
	v_add_f16_e32 v16, v105, v16
	s_movk_i32 s9, 0x34f2
	v_fma_f16 v104, v9, s15, v104
	v_add_f16_e32 v103, v54, v55
	v_fma_f16 v10, v16, s9, v10
	v_fma_f16 v16, v16, s9, v104
	v_add_f16_e32 v104, v51, v54
	v_add_f16_e32 v103, v53, v103
	v_fma_f16 v55, v104, -0.5, v55
	v_add_f16_e32 v103, v52, v103
	v_fma_f16 v104, v9, s16, v55
	v_fma_f16 v9, v9, s8, v55
	v_add_f16_e32 v103, v51, v103
	v_fma_f16 v104, v11, s14, v104
	v_sub_f16_e32 v53, v53, v54
	v_sub_f16_e32 v51, v52, v51
	v_fma_f16 v9, v11, s15, v9
	v_add_f16_e32 v11, v48, v49
	v_mul_f16_e32 v6, 0x38b4, v6
	s_movk_i32 s6, 0x3a79
	v_add_f16_e32 v51, v51, v53
	v_add_f16_e32 v11, v47, v11
	v_fma_f16 v6, v64, s6, v6
	v_mul_f16_e32 v49, 0x34f2, v68
	v_fma_f16 v9, v51, s9, v9
	v_add_f16_e32 v11, v46, v11
	v_add_f16_e32 v46, v10, v6
	v_fma_f16 v49, v66, s8, -v49
	v_sub_f16_e32 v55, v10, v6
	v_add_f16_e32 v6, v37, v38
	v_fma_f16 v52, v51, s9, v104
	v_add_f16_e32 v11, v44, v11
	v_add_f16_e32 v51, v9, v49
	v_sub_f16_e32 v49, v9, v49
	v_fma_f16 v6, v6, -0.5, v41
	v_sub_f16_e32 v9, v13, v14
	v_add_f16_e32 v44, v11, v103
	v_sub_f16_e32 v54, v103, v11
	v_fma_f16 v10, v9, s8, v6
	v_sub_f16_e32 v11, v12, v15
	v_sub_f16_e32 v12, v39, v38
	v_sub_f16_e32 v13, v36, v37
	v_fma_f16 v6, v9, s16, v6
	v_fma_f16 v10, v11, s14, v10
	v_add_f16_e32 v12, v13, v12
	v_fma_f16 v6, v11, s15, v6
	v_fma_f16 v10, v12, s9, v10
	;; [unrolled: 1-line block ×3, first 2 shown]
	v_add_f16_e32 v12, v36, v39
	v_mul_f16_e32 v47, 0x3b9c, v67
	v_mul_f16_e32 v53, 0x3a79, v63
	v_fma_f16 v12, v12, -0.5, v41
	v_fma_f16 v47, v65, s9, v47
	v_fma_f16 v5, v5, s14, -v53
	v_fma_f16 v13, v11, s16, v12
	v_fma_f16 v11, v11, s8, v12
	v_add_f16_e32 v48, v52, v47
	v_add_f16_e32 v53, v16, v5
	v_sub_f16_e32 v47, v52, v47
	v_sub_f16_e32 v52, v16, v5
	v_add_f16_e32 v5, v39, v41
	v_fma_f16 v13, v9, s14, v13
	v_sub_f16_e32 v14, v38, v39
	v_sub_f16_e32 v15, v37, v36
	v_fma_f16 v9, v9, s15, v11
	v_add_f16_e32 v11, v34, v35
	v_mul_f16_e32 v16, 0x3a79, v90
	v_add_f16_e32 v5, v38, v5
	v_add_f16_e32 v14, v15, v14
	;; [unrolled: 1-line block ×3, first 2 shown]
	v_mul_f16_e32 v15, 0x34f2, v92
	v_fma_f16 v16, v83, s14, -v16
	v_add_f16_e32 v5, v37, v5
	v_fma_f16 v13, v14, s9, v13
	v_fma_f16 v9, v14, s9, v9
	v_add_f16_e32 v11, v32, v11
	v_mul_f16_e32 v12, 0x38b4, v84
	v_mul_f16_e32 v14, 0x3b9c, v88
	v_fma_f16 v15, v87, s8, -v15
	v_add_f16_e32 v35, v6, v16
	v_sub_f16_e32 v41, v6, v16
	v_add_f16_e32 v6, v20, v19
	v_add_f16_e32 v5, v36, v5
	;; [unrolled: 1-line block ×3, first 2 shown]
	v_fma_f16 v12, v91, s6, v12
	v_fma_f16 v14, v93, s9, v14
	v_add_f16_e32 v34, v9, v15
	v_sub_f16_e32 v39, v9, v15
	v_fma_f16 v6, v6, -0.5, v18
	v_sub_f16_e32 v9, v23, v28
	v_add_f16_e32 v31, v11, v5
	v_add_f16_e32 v32, v10, v12
	;; [unrolled: 1-line block ×3, first 2 shown]
	v_sub_f16_e32 v36, v5, v11
	v_sub_f16_e32 v37, v10, v12
	;; [unrolled: 1-line block ×3, first 2 shown]
	v_fma_f16 v10, v9, s8, v6
	v_sub_f16_e32 v11, v22, v24
	v_sub_f16_e32 v12, v17, v19
	;; [unrolled: 1-line block ×3, first 2 shown]
	v_fma_f16 v10, v11, s14, v10
	v_add_f16_e32 v13, v13, v12
	v_fma_f16 v12, v13, s9, v10
	v_add_f16_e32 v10, v26, v25
	v_add_f16_e32 v10, v27, v10
	v_pack_b32_f16 v24, v48, v51
	v_pack_b32_f16 v25, v44, v46
	v_add_f16_e32 v5, v17, v18
	v_add_f16_e32 v10, v29, v10
	s_waitcnt lgkmcnt(0)
	s_barrier
	ds_write2_b32 v69, v25, v24 offset1:1
	v_pack_b32_f16 v24, v55, v47
	v_pack_b32_f16 v25, v53, v54
	v_add_f16_e32 v5, v19, v5
	v_fma_f16 v6, v9, s16, v6
	v_add_f16_e32 v14, v30, v10
	v_mul_f16_e32 v10, 0x38b4, v98
	ds_write2_b32 v69, v25, v24 offset0:2 offset1:3
	v_pack_b32_f16 v24, v49, v52
	v_add_f16_e32 v5, v20, v5
	v_fma_f16 v6, v11, s15, v6
	v_fma_f16 v23, v100, s6, v10
	v_mul_f16_e32 v10, 0x3a79, v101
	ds_write_b32 v69, v24 offset:16
	v_pack_b32_f16 v24, v33, v34
	v_pack_b32_f16 v25, v31, v32
	v_add_f16_e32 v5, v21, v5
	v_fma_f16 v6, v13, s9, v6
	v_fma_f16 v13, v99, s14, -v10
	ds_write2_b32 v89, v25, v24 offset1:1
	v_pack_b32_f16 v24, v37, v38
	v_pack_b32_f16 v25, v35, v36
	v_mul_i32_i24_e32 v102, 0xffffffee, v8
	v_add_f16_e32 v22, v6, v13
	v_sub_f16_e32 v16, v5, v14
	v_sub_f16_e32 v15, v12, v23
	v_add_u32_e32 v10, 0xb4, v7
	ds_write2_b32 v89, v25, v24 offset0:2 offset1:3
	v_pack_b32_f16 v24, v39, v41
	ds_write_b32 v89, v24 offset:16
	s_and_saveexec_b64 s[6:7], s[2:3]
	s_cbranch_execz .LBB0_21
; %bb.20:
	v_add_f16_e32 v24, v21, v17
	v_fma_f16 v18, v24, -0.5, v18
	v_fma_f16 v24, v11, s16, v18
	v_sub_f16_e32 v17, v19, v17
	v_sub_f16_e32 v19, v20, v21
	v_fma_f16 v11, v11, s8, v18
	v_fma_f16 v24, v9, s14, v24
	v_add_f16_e32 v17, v19, v17
	v_fma_f16 v9, v9, s15, v11
	v_fma_f16 v19, v17, s9, v24
	v_fma_f16 v9, v17, s9, v9
	v_add_f16_e32 v11, v12, v23
	v_mul_f16_e32 v12, 0x3b9c, v95
	v_mul_f16_e32 v17, 0x34f2, v96
	v_fma_f16 v12, v97, s9, v12
	v_fma_f16 v17, v94, s8, -v17
	v_add_f16_e32 v5, v14, v5
	v_add_f16_e32 v14, v19, v12
	;; [unrolled: 1-line block ×3, first 2 shown]
	v_sub_f16_e32 v6, v6, v13
	v_mul_u32_u24_e32 v13, 10, v10
	v_sub_f16_e32 v12, v19, v12
	v_lshl_add_u32 v13, v13, 1, 0
	v_pack_b32_f16 v14, v14, v18
	v_pack_b32_f16 v5, v5, v11
	s_mov_b32 s2, 0x5040100
	v_sub_f16_e32 v9, v9, v17
	ds_write2_b32 v13, v5, v14 offset1:1
	v_perm_b32 v5, v16, v22, s2
	v_perm_b32 v11, v12, v15, s2
	ds_write2_b32 v13, v5, v11 offset0:2 offset1:3
	v_pack_b32_f16 v5, v9, v6
	ds_write_b32 v13, v5 offset:16
.LBB0_21:
	s_or_b64 exec, exec, s[6:7]
	s_waitcnt lgkmcnt(0)
	s_barrier
	v_add_u32_e32 v9, v89, v102
	ds_read_u16 v24, v0
	ds_read_u16 v23, v0 offset:360
	ds_read_u16 v21, v0 offset:540
	;; [unrolled: 1-line block ×21, first 2 shown]
	ds_read_u16 v25, v9
	ds_read_u16 v26, v0 offset:4260
	s_and_saveexec_b64 s[2:3], s[0:1]
	s_cbranch_execz .LBB0_23
; %bb.22:
	ds_read_u16 v22, v0 offset:1440
	ds_read_u16 v16, v0 offset:2940
	;; [unrolled: 1-line block ×3, first 2 shown]
.LBB0_23:
	s_or_b64 exec, exec, s[2:3]
	s_movk_i32 s2, 0xcd
	v_mul_lo_u16_sdwa v5, v7, s2 dst_sel:DWORD dst_unused:UNUSED_PAD src0_sel:BYTE_0 src1_sel:DWORD
	v_mul_lo_u16_sdwa v11, v8, s2 dst_sel:DWORD dst_unused:UNUSED_PAD src0_sel:BYTE_0 src1_sel:DWORD
	v_lshrrev_b16_e32 v95, 11, v5
	v_lshrrev_b16_e32 v96, 11, v11
	v_mul_lo_u16_e32 v5, 10, v95
	v_mul_lo_u16_e32 v11, 10, v96
	v_sub_u16_e32 v48, v7, v5
	v_mov_b32_e32 v5, 3
	v_sub_u16_e32 v49, v8, v11
	v_lshlrev_b32_sdwa v6, v5, v48 dst_sel:DWORD dst_unused:UNUSED_PAD src0_sel:DWORD src1_sel:BYTE_0
	v_lshlrev_b32_sdwa v5, v5, v49 dst_sel:DWORD dst_unused:UNUSED_PAD src0_sel:DWORD src1_sel:BYTE_0
	s_mov_b32 s2, 0xcccd
	global_load_dwordx2 v[46:47], v6, s[12:13]
	global_load_dwordx2 v[51:52], v5, s[12:13]
	v_mul_u32_u24_sdwa v6, v10, s2 dst_sel:DWORD dst_unused:UNUSED_PAD src0_sel:WORD_0 src1_sel:DWORD
	v_lshrrev_b32_e32 v97, 19, v6
	v_mul_lo_u16_e32 v5, 10, v97
	v_sub_u16_e32 v53, v10, v5
	v_lshlrev_b32_e32 v5, 3, v53
	v_add_u32_e32 v11, 0x10e, v7
	global_load_dwordx2 v[63:64], v5, s[12:13]
	v_mul_u32_u24_sdwa v5, v11, s2 dst_sel:DWORD dst_unused:UNUSED_PAD src0_sel:WORD_0 src1_sel:DWORD
	v_lshrrev_b32_e32 v98, 19, v5
	v_mul_lo_u16_e32 v5, 10, v98
	v_sub_u16_e32 v55, v11, v5
	v_lshlrev_b32_e32 v5, 3, v55
	global_load_dwordx2 v[66:67], v5, s[12:13]
	v_add_u32_e32 v5, 0x168, v7
	v_mul_u32_u24_sdwa v6, v5, s2 dst_sel:DWORD dst_unused:UNUSED_PAD src0_sel:WORD_0 src1_sel:DWORD
	v_lshrrev_b32_e32 v99, 19, v6
	v_mul_lo_u16_e32 v6, 10, v99
	v_sub_u16_e32 v69, v5, v6
	v_lshlrev_b32_e32 v6, 3, v69
	global_load_dwordx2 v[83:84], v6, s[12:13]
	v_add_u32_e32 v6, 0x1c2, v7
	;; [unrolled: 7-line block ×5, first 2 shown]
	v_mul_u32_u24_sdwa v54, v14, s2 dst_sel:DWORD dst_unused:UNUSED_PAD src0_sel:WORD_0 src1_sel:DWORD
	v_lshrrev_b32_e32 v106, 19, v54
	v_mul_lo_u16_e32 v54, 10, v106
	v_sub_u16_e32 v107, v14, v54
	v_lshlrev_b32_e32 v54, 3, v107
	global_load_dwordx2 v[93:94], v54, s[12:13]
	v_mov_b32_e32 v54, 1
	v_lshlrev_b32_sdwa v108, v54, v48 dst_sel:DWORD dst_unused:UNUSED_PAD src0_sel:DWORD src1_sel:BYTE_0
	v_lshlrev_b32_sdwa v109, v54, v49 dst_sel:DWORD dst_unused:UNUSED_PAD src0_sel:DWORD src1_sel:BYTE_0
	v_lshlrev_b32_e32 v110, 1, v53
	s_mov_b32 s6, 0xbaee
	s_movk_i32 s7, 0x3aee
	s_waitcnt vmcnt(0) lgkmcnt(0)
	s_barrier
	v_mul_f16_sdwa v54, v86, v47 dst_sel:DWORD dst_unused:UNUSED_PAD src0_sel:DWORD src1_sel:WORD_1
	v_mul_f16_sdwa v49, v85, v46 dst_sel:DWORD dst_unused:UNUSED_PAD src0_sel:DWORD src1_sel:WORD_1
	;; [unrolled: 1-line block ×5, first 2 shown]
	v_fma_f16 v68, v44, v47, -v54
	v_mul_f16_sdwa v48, v41, v46 dst_sel:DWORD dst_unused:UNUSED_PAD src0_sel:DWORD src1_sel:WORD_1
	v_fma_f16 v65, v41, v46, -v49
	v_mul_f16_sdwa v116, v79, v63 dst_sel:DWORD dst_unused:UNUSED_PAD src0_sel:DWORD src1_sel:WORD_1
	v_mul_f16_sdwa v115, v36, v63 dst_sel:DWORD dst_unused:UNUSED_PAD src0_sel:DWORD src1_sel:WORD_1
	v_fma_f16 v44, v36, v63, -v116
	v_mul_f16_sdwa v36, v81, v64 dst_sel:DWORD dst_unused:UNUSED_PAD src0_sel:DWORD src1_sel:WORD_1
	v_mul_f16_sdwa v117, v38, v64 dst_sel:DWORD dst_unused:UNUSED_PAD src0_sel:DWORD src1_sel:WORD_1
	v_fma_f16 v41, v80, v51, v111
	v_fma_f16 v49, v37, v51, -v112
	v_fma_f16 v51, v38, v64, -v36
	v_mul_f16_sdwa v38, v77, v66 dst_sel:DWORD dst_unused:UNUSED_PAD src0_sel:DWORD src1_sel:WORD_1
	v_mul_f16_sdwa v36, v34, v66 dst_sel:DWORD dst_unused:UNUSED_PAD src0_sel:DWORD src1_sel:WORD_1
	v_fma_f16 v38, v34, v66, -v38
	v_mul_f16_sdwa v34, v35, v67 dst_sel:DWORD dst_unused:UNUSED_PAD src0_sel:DWORD src1_sel:WORD_1
	v_fma_f16 v48, v85, v46, v48
	v_fma_f16 v46, v78, v67, v34
	v_mul_f16_sdwa v34, v78, v67 dst_sel:DWORD dst_unused:UNUSED_PAD src0_sel:DWORD src1_sel:WORD_1
	v_fma_f16 v37, v79, v63, v115
	v_lshlrev_b32_e32 v79, 1, v55
	v_fma_f16 v55, v35, v67, -v34
	v_mul_f16_sdwa v35, v75, v83 dst_sel:DWORD dst_unused:UNUSED_PAD src0_sel:DWORD src1_sel:WORD_1
	v_mul_f16_sdwa v113, v39, v52 dst_sel:DWORD dst_unused:UNUSED_PAD src0_sel:DWORD src1_sel:WORD_1
	;; [unrolled: 1-line block ×4, first 2 shown]
	v_fma_f16 v35, v32, v83, -v35
	v_mul_f16_sdwa v32, v33, v84 dst_sel:DWORD dst_unused:UNUSED_PAD src0_sel:DWORD src1_sel:WORD_1
	v_fma_f16 v53, v86, v47, v53
	v_fma_f16 v47, v82, v52, v113
	v_fma_f16 v54, v39, v52, -v114
	v_fma_f16 v52, v76, v84, v32
	v_mul_f16_sdwa v32, v76, v84 dst_sel:DWORD dst_unused:UNUSED_PAD src0_sel:DWORD src1_sel:WORD_1
	v_fma_f16 v36, v77, v66, v36
	v_fma_f16 v66, v33, v84, -v32
	v_mul_f16_sdwa v33, v73, v87 dst_sel:DWORD dst_unused:UNUSED_PAD src0_sel:DWORD src1_sel:WORD_1
	v_mul_f16_sdwa v32, v30, v87 dst_sel:DWORD dst_unused:UNUSED_PAD src0_sel:DWORD src1_sel:WORD_1
	v_fma_f16 v63, v30, v87, -v33
	v_mul_f16_sdwa v30, v31, v88 dst_sel:DWORD dst_unused:UNUSED_PAD src0_sel:DWORD src1_sel:WORD_1
	v_fma_f16 v39, v81, v64, v117
	v_fma_f16 v64, v74, v88, v30
	v_mul_f16_sdwa v30, v74, v88 dst_sel:DWORD dst_unused:UNUSED_PAD src0_sel:DWORD src1_sel:WORD_1
	v_lshlrev_b32_e32 v77, 1, v69
	v_fma_f16 v69, v31, v88, -v30
	v_mul_f16_sdwa v31, v70, v89 dst_sel:DWORD dst_unused:UNUSED_PAD src0_sel:DWORD src1_sel:WORD_1
	v_mul_f16_sdwa v30, v27, v89 dst_sel:DWORD dst_unused:UNUSED_PAD src0_sel:DWORD src1_sel:WORD_1
	v_fma_f16 v31, v27, v89, -v31
	v_mul_f16_sdwa v27, v29, v90 dst_sel:DWORD dst_unused:UNUSED_PAD src0_sel:DWORD src1_sel:WORD_1
	v_fma_f16 v67, v72, v90, v27
	v_mul_f16_sdwa v27, v72, v90 dst_sel:DWORD dst_unused:UNUSED_PAD src0_sel:DWORD src1_sel:WORD_1
	v_fma_f16 v72, v29, v90, -v27
	v_mul_f16_sdwa v29, v71, v91 dst_sel:DWORD dst_unused:UNUSED_PAD src0_sel:DWORD src1_sel:WORD_1
	v_mul_f16_sdwa v27, v28, v91 dst_sel:DWORD dst_unused:UNUSED_PAD src0_sel:DWORD src1_sel:WORD_1
	v_fma_f16 v28, v28, v91, -v29
	v_mul_f16_sdwa v29, v26, v92 dst_sel:DWORD dst_unused:UNUSED_PAD src0_sel:DWORD src1_sel:WORD_1
	v_fma_f16 v30, v70, v89, v30
	v_fma_f16 v70, v62, v92, v29
	v_mul_f16_sdwa v29, v62, v92 dst_sel:DWORD dst_unused:UNUSED_PAD src0_sel:DWORD src1_sel:WORD_1
	v_fma_f16 v62, v26, v92, -v29
	v_mul_f16_sdwa v29, v45, v93 dst_sel:DWORD dst_unused:UNUSED_PAD src0_sel:DWORD src1_sel:WORD_1
	v_mul_f16_sdwa v26, v16, v93 dst_sel:DWORD dst_unused:UNUSED_PAD src0_sel:DWORD src1_sel:WORD_1
	v_fma_f16 v29, v16, v93, -v29
	v_mul_f16_sdwa v16, v15, v94 dst_sel:DWORD dst_unused:UNUSED_PAD src0_sel:DWORD src1_sel:WORD_1
	v_fma_f16 v26, v45, v93, v26
	v_fma_f16 v45, v43, v94, v16
	v_mul_f16_sdwa v16, v43, v94 dst_sel:DWORD dst_unused:UNUSED_PAD src0_sel:DWORD src1_sel:WORD_1
	v_fma_f16 v33, v15, v94, -v16
	v_add_f16_e32 v15, v60, v48
	v_fma_f16 v27, v71, v91, v27
	v_add_f16_e32 v71, v15, v53
	v_add_f16_e32 v15, v48, v53
	v_fma_f16 v15, v15, -0.5, v60
	v_sub_f16_e32 v16, v65, v68
	v_fma_f16 v60, v16, s6, v15
	v_fma_f16 v76, v16, s7, v15
	v_add_f16_e32 v15, v61, v41
	v_add_f16_e32 v78, v15, v47
	v_add_f16_e32 v15, v41, v47
	v_fma_f16 v15, v15, -0.5, v61
	v_sub_f16_e32 v16, v49, v54
	v_fma_f16 v61, v16, s6, v15
	v_fma_f16 v80, v16, s7, v15
	v_add_f16_e32 v15, v59, v37
	;; [unrolled: 7-line block ×3, first 2 shown]
	v_fma_f16 v34, v75, v83, v34
	v_add_f16_e32 v83, v15, v46
	v_add_f16_e32 v15, v36, v46
	v_fma_f16 v15, v15, -0.5, v58
	v_sub_f16_e32 v16, v38, v55
	v_fma_f16 v58, v16, s6, v15
	v_fma_f16 v84, v16, s7, v15
	v_add_f16_e32 v15, v57, v34
	v_add_f16_e32 v85, v15, v52
	;; [unrolled: 1-line block ×3, first 2 shown]
	v_fma_f16 v32, v73, v87, v32
	v_fma_f16 v15, v15, -0.5, v57
	v_sub_f16_e32 v16, v35, v66
	v_fma_f16 v86, v16, s6, v15
	v_fma_f16 v87, v16, s7, v15
	v_add_f16_e32 v15, v50, v32
	v_add_f16_e32 v88, v15, v64
	v_add_f16_e32 v15, v32, v64
	v_fma_f16 v15, v15, -0.5, v50
	v_sub_f16_e32 v16, v63, v69
	v_fma_f16 v89, v16, s6, v15
	v_fma_f16 v90, v16, s7, v15
	v_add_f16_e32 v15, v42, v30
	v_add_f16_e32 v91, v15, v67
	v_add_f16_e32 v15, v30, v67
	;; [unrolled: 7-line block ×3, first 2 shown]
	v_fma_f16 v15, v15, -0.5, v56
	v_sub_f16_e32 v16, v28, v62
	v_lshlrev_b32_e32 v75, 1, v101
	v_fma_f16 v94, v16, s6, v15
	v_fma_f16 v101, v16, s7, v15
	v_add_f16_e32 v15, v26, v45
	v_fma_f16 v15, v15, -0.5, v40
	v_sub_f16_e32 v43, v29, v33
	v_fma_f16 v16, v43, s6, v15
	v_fma_f16 v15, v43, s7, v15
	v_mul_u32_u24_e32 v43, 60, v95
	v_mul_u32_u24_e32 v50, 60, v96
	;; [unrolled: 1-line block ×3, first 2 shown]
	v_add3_u32 v43, 0, v43, v108
	v_add3_u32 v50, 0, v50, v109
	;; [unrolled: 1-line block ×3, first 2 shown]
	v_mul_u32_u24_e32 v57, 60, v98
	ds_write_b16 v43, v71
	ds_write_b16 v43, v60 offset:20
	ds_write_b16 v43, v76 offset:40
	ds_write_b16 v50, v78
	ds_write_b16 v50, v61 offset:20
	ds_write_b16 v50, v80 offset:40
	;; [unrolled: 3-line block ×3, first 2 shown]
	v_add3_u32 v57, 0, v57, v79
	v_mul_u32_u24_e32 v59, 60, v100
	v_lshlrev_b32_e32 v73, 1, v103
	ds_write_b16 v57, v83
	ds_write_b16 v57, v58 offset:20
	ds_write_b16 v57, v84 offset:40
	v_mul_u32_u24_e32 v58, 60, v99
	v_add3_u32 v61, 0, v59, v75
	v_mul_u32_u24_e32 v59, 60, v102
	v_add3_u32 v58, 0, v58, v77
	v_add3_u32 v71, 0, v59, v73
	v_lshlrev_b32_e32 v74, 1, v105
	ds_write_b16 v58, v85
	ds_write_b16 v58, v86 offset:20
	ds_write_b16 v58, v87 offset:40
	ds_write_b16 v61, v88
	ds_write_b16 v61, v89 offset:20
	ds_write_b16 v61, v90 offset:40
	;; [unrolled: 3-line block ×3, first 2 shown]
	v_mul_u32_u24_e32 v42, 60, v104
	v_add3_u32 v73, 0, v42, v74
	v_mul_lo_u16_e32 v59, 30, v106
	v_lshlrev_b32_e32 v60, 1, v107
	ds_write_b16 v73, v93
	ds_write_b16 v73, v94 offset:20
	ds_write_b16 v73, v101 offset:40
	s_and_saveexec_b64 s[2:3], s[0:1]
	s_cbranch_execz .LBB0_25
; %bb.24:
	v_add_f16_e32 v40, v40, v26
	v_lshlrev_b32_e32 v42, 1, v59
	v_add_f16_e32 v40, v40, v45
	v_add3_u32 v42, 0, v60, v42
	ds_write_b16 v42, v40
	ds_write_b16 v42, v16 offset:20
	ds_write_b16 v42, v15 offset:40
.LBB0_25:
	s_or_b64 exec, exec, s[2:3]
	v_add_f16_e32 v40, v24, v65
	v_add_f16_e32 v74, v40, v68
	v_add_f16_e32 v40, v65, v68
	v_fma_f16 v24, v40, -0.5, v24
	v_sub_f16_e32 v40, v48, v53
	v_fma_f16 v53, v40, s7, v24
	v_fma_f16 v65, v40, s6, v24
	v_add_f16_e32 v24, v25, v49
	v_add_f16_e32 v68, v24, v54
	v_add_f16_e32 v24, v49, v54
	v_fma_f16 v24, v24, -0.5, v25
	v_sub_f16_e32 v25, v41, v47
	v_fma_f16 v47, v25, s7, v24
	v_fma_f16 v54, v25, s6, v24
	;; [unrolled: 7-line block ×8, first 2 shown]
	v_add_f16_e32 v17, v29, v33
	v_fma_f16 v17, v17, -0.5, v22
	v_sub_f16_e32 v19, v26, v45
	v_fma_f16 v18, v19, s7, v17
	v_fma_f16 v17, v19, s6, v17
	s_waitcnt lgkmcnt(0)
	s_barrier
	ds_read_u16 v23, v9
	ds_read_u16 v37, v0 offset:2880
	ds_read_u16 v24, v0
	ds_read_u16 v21, v0 offset:360
	ds_read_u16 v19, v0 offset:540
	;; [unrolled: 1-line block ×22, first 2 shown]
	s_waitcnt lgkmcnt(0)
	s_barrier
	ds_write_b16 v43, v74
	ds_write_b16 v43, v53 offset:20
	ds_write_b16 v43, v65 offset:40
	ds_write_b16 v50, v68
	ds_write_b16 v50, v47 offset:20
	ds_write_b16 v50, v54 offset:40
	;; [unrolled: 3-line block ×8, first 2 shown]
	s_and_saveexec_b64 s[2:3], s[0:1]
	s_cbranch_execz .LBB0_27
; %bb.26:
	v_add_f16_e32 v22, v22, v29
	v_lshlrev_b32_e32 v29, 1, v59
	v_add_f16_e32 v22, v22, v33
	v_add3_u32 v29, 0, v60, v29
	ds_write_b16 v29, v22
	ds_write_b16 v29, v18 offset:20
	ds_write_b16 v29, v17 offset:40
.LBB0_27:
	s_or_b64 exec, exec, s[2:3]
	s_movk_i32 s2, 0x89
	v_mul_lo_u16_sdwa v22, v7, s2 dst_sel:DWORD dst_unused:UNUSED_PAD src0_sel:BYTE_0 src1_sel:DWORD
	v_lshrrev_b16_e32 v33, 12, v22
	v_mul_lo_u16_e32 v22, 30, v33
	v_sub_u16_e32 v97, v7, v22
	v_mov_b32_e32 v22, 4
	v_lshlrev_b32_sdwa v29, v22, v97 dst_sel:DWORD dst_unused:UNUSED_PAD src0_sel:DWORD src1_sel:BYTE_0
	s_waitcnt lgkmcnt(0)
	s_barrier
	global_load_dwordx4 v[50:53], v29, s[12:13] offset:80
	v_mul_lo_u16_sdwa v29, v8, s2 dst_sel:DWORD dst_unused:UNUSED_PAD src0_sel:BYTE_0 src1_sel:DWORD
	v_lshrrev_b16_e32 v98, 12, v29
	v_mul_lo_u16_e32 v29, 30, v98
	v_sub_u16_e32 v99, v8, v29
	v_lshlrev_b32_sdwa v22, v22, v99 dst_sel:DWORD dst_unused:UNUSED_PAD src0_sel:DWORD src1_sel:BYTE_0
	s_mov_b32 s2, 0x8889
	global_load_dwordx4 v[54:57], v22, s[12:13] offset:80
	v_mul_u32_u24_sdwa v22, v10, s2 dst_sel:DWORD dst_unused:UNUSED_PAD src0_sel:WORD_0 src1_sel:DWORD
	v_lshrrev_b32_e32 v100, 20, v22
	v_mul_lo_u16_e32 v22, 30, v100
	v_sub_u16_e32 v101, v10, v22
	v_lshlrev_b32_e32 v22, 4, v101
	global_load_dwordx4 v[60:63], v22, s[12:13] offset:80
	v_mul_u32_u24_sdwa v22, v11, s2 dst_sel:DWORD dst_unused:UNUSED_PAD src0_sel:WORD_0 src1_sel:DWORD
	v_lshrrev_b32_e32 v102, 20, v22
	v_mul_lo_u16_e32 v22, 30, v102
	v_sub_u16_e32 v103, v11, v22
	v_lshlrev_b32_e32 v22, 4, v103
	;; [unrolled: 6-line block ×3, first 2 shown]
	ds_read_u16 v43, v9
	ds_read_u16 v58, v0 offset:2880
	ds_read_u16 v47, v0
	ds_read_u16 v34, v0 offset:360
	ds_read_u16 v22, v0 offset:540
	;; [unrolled: 1-line block ×5, first 2 shown]
	global_load_dwordx4 v[93:96], v29, s[12:13] offset:80
	ds_read_u16 v65, v0 offset:1980
	ds_read_u16 v67, v0 offset:2160
	;; [unrolled: 1-line block ×17, first 2 shown]
	s_mov_b32 s7, 0xbb9c
	s_movk_i32 s9, 0x3b9c
	s_mov_b32 s6, 0xb8b4
	s_movk_i32 s8, 0x34f2
	v_mul_u32_u24_e32 v33, 0x12c, v33
	s_waitcnt vmcnt(0) lgkmcnt(0)
	s_barrier
	v_mul_f16_sdwa v79, v70, v52 dst_sel:DWORD dst_unused:UNUSED_PAD src0_sel:DWORD src1_sel:WORD_1
	v_mul_f16_sdwa v81, v45, v52 dst_sel:DWORD dst_unused:UNUSED_PAD src0_sel:DWORD src1_sel:WORD_1
	v_fma_f16 v87, v45, v52, v79
	v_mul_f16_sdwa v75, v46, v50 dst_sel:DWORD dst_unused:UNUSED_PAD src0_sel:DWORD src1_sel:WORD_1
	v_fma_f16 v83, v70, v52, -v81
	v_fma_f16 v80, v68, v50, -v75
	v_mul_f16_sdwa v73, v68, v50 dst_sel:DWORD dst_unused:UNUSED_PAD src0_sel:DWORD src1_sel:WORD_1
	v_mul_f16_sdwa v118, v58, v56 dst_sel:DWORD dst_unused:UNUSED_PAD src0_sel:DWORD src1_sel:WORD_1
	;; [unrolled: 1-line block ×3, first 2 shown]
	v_fma_f16 v79, v37, v56, v118
	v_mul_f16_sdwa v37, v74, v57 dst_sel:DWORD dst_unused:UNUSED_PAD src0_sel:DWORD src1_sel:WORD_1
	v_fma_f16 v81, v44, v57, v37
	v_mul_f16_sdwa v37, v44, v57 dst_sel:DWORD dst_unused:UNUSED_PAD src0_sel:DWORD src1_sel:WORD_1
	v_fma_f16 v75, v74, v57, -v37
	v_mul_f16_sdwa v37, v64, v60 dst_sel:DWORD dst_unused:UNUSED_PAD src0_sel:DWORD src1_sel:WORD_1
	v_fma_f16 v68, v39, v60, v37
	v_mul_f16_sdwa v37, v39, v60 dst_sel:DWORD dst_unused:UNUSED_PAD src0_sel:DWORD src1_sel:WORD_1
	v_fma_f16 v60, v64, v60, -v37
	;; [unrolled: 4-line block ×3, first 2 shown]
	v_mul_f16_sdwa v37, v76, v62 dst_sel:DWORD dst_unused:UNUSED_PAD src0_sel:DWORD src1_sel:WORD_1
	v_mul_f16_sdwa v84, v72, v53 dst_sel:DWORD dst_unused:UNUSED_PAD src0_sel:DWORD src1_sel:WORD_1
	;; [unrolled: 1-line block ×4, first 2 shown]
	v_fma_f16 v74, v36, v62, v37
	v_mul_f16_sdwa v36, v36, v62 dst_sel:DWORD dst_unused:UNUSED_PAD src0_sel:DWORD src1_sel:WORD_1
	v_mul_f16_sdwa v116, v65, v55 dst_sel:DWORD dst_unused:UNUSED_PAD src0_sel:DWORD src1_sel:WORD_1
	v_fma_f16 v88, v49, v53, v84
	v_fma_f16 v84, v72, v53, -v113
	v_fma_f16 v72, v65, v55, -v117
	;; [unrolled: 1-line block ×3, first 2 shown]
	v_mul_f16_sdwa v36, v109, v63 dst_sel:DWORD dst_unused:UNUSED_PAD src0_sel:DWORD src1_sel:WORD_1
	v_fma_f16 v76, v40, v63, v36
	v_mul_f16_sdwa v36, v40, v63 dst_sel:DWORD dst_unused:UNUSED_PAD src0_sel:DWORD src1_sel:WORD_1
	v_fma_f16 v67, v109, v63, -v36
	v_mul_f16_sdwa v36, v66, v89 dst_sel:DWORD dst_unused:UNUSED_PAD src0_sel:DWORD src1_sel:WORD_1
	v_fma_f16 v61, v32, v89, v36
	v_mul_f16_sdwa v32, v32, v89 dst_sel:DWORD dst_unused:UNUSED_PAD src0_sel:DWORD src1_sel:WORD_1
	v_fma_f16 v53, v66, v89, -v32
	v_mul_f16_sdwa v32, v69, v90 dst_sel:DWORD dst_unused:UNUSED_PAD src0_sel:DWORD src1_sel:WORD_1
	v_fma_f16 v63, v31, v90, v32
	v_mul_f16_sdwa v31, v31, v90 dst_sel:DWORD dst_unused:UNUSED_PAD src0_sel:DWORD src1_sel:WORD_1
	v_fma_f16 v85, v46, v50, v73
	v_fma_f16 v73, v58, v56, -v119
	v_fma_f16 v56, v69, v90, -v31
	v_mul_f16_sdwa v31, v106, v91 dst_sel:DWORD dst_unused:UNUSED_PAD src0_sel:DWORD src1_sel:WORD_1
	v_fma_f16 v66, v28, v91, v31
	v_mul_f16_sdwa v28, v28, v91 dst_sel:DWORD dst_unused:UNUSED_PAD src0_sel:DWORD src1_sel:WORD_1
	v_fma_f16 v57, v106, v91, -v28
	v_mul_f16_sdwa v28, v110, v92 dst_sel:DWORD dst_unused:UNUSED_PAD src0_sel:DWORD src1_sel:WORD_1
	v_mul_f16_sdwa v78, v48, v51 dst_sel:DWORD dst_unused:UNUSED_PAD src0_sel:DWORD src1_sel:WORD_1
	;; [unrolled: 1-line block ×3, first 2 shown]
	v_fma_f16 v69, v35, v92, v28
	v_mul_f16_sdwa v28, v35, v92 dst_sel:DWORD dst_unused:UNUSED_PAD src0_sel:DWORD src1_sel:WORD_1
	v_mul_f16_sdwa v77, v71, v51 dst_sel:DWORD dst_unused:UNUSED_PAD src0_sel:DWORD src1_sel:WORD_1
	;; [unrolled: 1-line block ×3, first 2 shown]
	v_fma_f16 v82, v71, v51, -v78
	v_fma_f16 v71, v59, v54, -v115
	;; [unrolled: 1-line block ×3, first 2 shown]
	v_mul_f16_sdwa v28, v108, v93 dst_sel:DWORD dst_unused:UNUSED_PAD src0_sel:DWORD src1_sel:WORD_1
	v_fma_f16 v86, v48, v51, v77
	v_fma_f16 v77, v41, v54, v114
	;; [unrolled: 1-line block ×3, first 2 shown]
	v_mul_f16_sdwa v28, v30, v93 dst_sel:DWORD dst_unused:UNUSED_PAD src0_sel:DWORD src1_sel:WORD_1
	v_fma_f16 v46, v108, v93, -v28
	v_mul_f16_sdwa v28, v107, v94 dst_sel:DWORD dst_unused:UNUSED_PAD src0_sel:DWORD src1_sel:WORD_1
	v_fma_f16 v78, v42, v55, v116
	v_fma_f16 v55, v26, v94, v28
	v_mul_f16_sdwa v26, v26, v94 dst_sel:DWORD dst_unused:UNUSED_PAD src0_sel:DWORD src1_sel:WORD_1
	v_fma_f16 v50, v107, v94, -v26
	v_mul_f16_sdwa v26, v112, v95 dst_sel:DWORD dst_unused:UNUSED_PAD src0_sel:DWORD src1_sel:WORD_1
	v_fma_f16 v58, v27, v95, v26
	v_mul_f16_sdwa v26, v27, v95 dst_sel:DWORD dst_unused:UNUSED_PAD src0_sel:DWORD src1_sel:WORD_1
	v_fma_f16 v51, v112, v95, -v26
	v_mul_f16_sdwa v26, v111, v96 dst_sel:DWORD dst_unused:UNUSED_PAD src0_sel:DWORD src1_sel:WORD_1
	v_fma_f16 v62, v25, v96, v26
	v_add_f16_e32 v26, v86, v87
	v_fma_f16 v26, v26, -0.5, v24
	v_sub_f16_e32 v27, v80, v84
	v_fma_f16 v28, v27, s7, v26
	v_sub_f16_e32 v30, v82, v83
	v_sub_f16_e32 v31, v85, v86
	;; [unrolled: 1-line block ×3, first 2 shown]
	v_fma_f16 v26, v27, s9, v26
	v_fma_f16 v28, v30, s6, v28
	v_add_f16_e32 v31, v31, v32
	v_fma_f16 v26, v30, s14, v26
	v_mul_f16_sdwa v25, v25, v96 dst_sel:DWORD dst_unused:UNUSED_PAD src0_sel:DWORD src1_sel:WORD_1
	v_fma_f16 v28, v31, s8, v28
	v_fma_f16 v26, v31, s8, v26
	v_add_f16_e32 v31, v85, v88
	v_fma_f16 v52, v111, v96, -v25
	v_add_f16_e32 v25, v24, v85
	v_fma_f16 v24, v31, -0.5, v24
	v_fma_f16 v31, v30, s9, v24
	v_sub_f16_e32 v32, v86, v85
	v_sub_f16_e32 v35, v87, v88
	v_fma_f16 v24, v30, s7, v24
	v_fma_f16 v31, v27, s6, v31
	v_add_f16_e32 v32, v32, v35
	v_fma_f16 v24, v27, s14, v24
	v_add_f16_e32 v30, v78, v79
	v_fma_f16 v31, v32, s8, v31
	v_fma_f16 v24, v32, s8, v24
	v_fma_f16 v30, v30, -0.5, v23
	v_sub_f16_e32 v32, v71, v75
	v_fma_f16 v35, v32, s7, v30
	v_sub_f16_e32 v36, v72, v73
	v_sub_f16_e32 v37, v77, v78
	v_sub_f16_e32 v38, v81, v79
	v_fma_f16 v30, v32, s9, v30
	v_fma_f16 v35, v36, s6, v35
	v_add_f16_e32 v37, v37, v38
	v_fma_f16 v30, v36, s14, v30
	v_fma_f16 v35, v37, s8, v35
	v_fma_f16 v30, v37, s8, v30
	v_add_f16_e32 v37, v77, v81
	v_add_f16_e32 v27, v23, v77
	v_fma_f16 v23, v37, -0.5, v23
	v_fma_f16 v37, v36, s9, v23
	v_sub_f16_e32 v38, v78, v77
	v_sub_f16_e32 v39, v79, v81
	v_fma_f16 v23, v36, s7, v23
	v_fma_f16 v37, v32, s6, v37
	v_add_f16_e32 v38, v38, v39
	v_fma_f16 v23, v32, s14, v23
	v_add_f16_e32 v36, v70, v74
	v_fma_f16 v37, v38, s8, v37
	v_fma_f16 v23, v38, s8, v23
	v_fma_f16 v36, v36, -0.5, v21
	v_sub_f16_e32 v38, v60, v67
	v_fma_f16 v39, v38, s7, v36
	v_sub_f16_e32 v40, v64, v65
	v_sub_f16_e32 v41, v68, v70
	v_sub_f16_e32 v42, v76, v74
	v_fma_f16 v36, v38, s9, v36
	v_fma_f16 v39, v40, s6, v39
	v_add_f16_e32 v41, v41, v42
	v_fma_f16 v36, v40, s14, v36
	v_fma_f16 v39, v41, s8, v39
	v_fma_f16 v36, v41, s8, v36
	v_add_f16_e32 v41, v68, v76
	;; [unrolled: 25-line block ×3, first 2 shown]
	v_add_f16_e32 v38, v19, v61
	v_fma_f16 v19, v48, -0.5, v19
	v_fma_f16 v48, v45, s9, v19
	v_sub_f16_e32 v49, v63, v61
	v_sub_f16_e32 v89, v66, v69
	v_fma_f16 v19, v45, s7, v19
	v_add_f16_e32 v49, v49, v89
	v_fma_f16 v19, v42, s14, v19
	v_fma_f16 v48, v42, s6, v48
	;; [unrolled: 1-line block ×3, first 2 shown]
	v_add_f16_e32 v19, v20, v54
	v_add_f16_e32 v19, v19, v55
	;; [unrolled: 1-line block ×5, first 2 shown]
	v_fma_f16 v48, v49, s8, v48
	v_fma_f16 v19, v19, -0.5, v20
	v_sub_f16_e32 v49, v46, v52
	v_fma_f16 v89, v49, s7, v19
	v_sub_f16_e32 v90, v50, v51
	v_sub_f16_e32 v91, v54, v55
	;; [unrolled: 1-line block ×3, first 2 shown]
	v_fma_f16 v89, v90, s6, v89
	v_add_f16_e32 v91, v91, v92
	v_fma_f16 v92, v91, s8, v89
	v_fma_f16 v19, v49, s9, v19
	v_add_f16_e32 v89, v54, v62
	v_fma_f16 v19, v90, s14, v19
	v_fma_f16 v20, v89, -0.5, v20
	v_fma_f16 v19, v91, s8, v19
	v_fma_f16 v89, v90, s9, v20
	v_sub_f16_e32 v91, v55, v54
	v_sub_f16_e32 v93, v58, v62
	v_fma_f16 v20, v90, s7, v20
	v_add_f16_e32 v25, v25, v86
	v_fma_f16 v89, v49, s6, v89
	v_add_f16_e32 v91, v91, v93
	v_fma_f16 v20, v49, s14, v20
	v_mov_b32_e32 v49, 1
	v_add_f16_e32 v25, v25, v87
	v_fma_f16 v95, v91, s8, v89
	v_lshlrev_b32_sdwa v89, v49, v97 dst_sel:DWORD dst_unused:UNUSED_PAD src0_sel:DWORD src1_sel:BYTE_0
	v_add_f16_e32 v25, v25, v88
	v_add_f16_e32 v27, v27, v78
	v_add3_u32 v89, 0, v33, v89
	v_add_f16_e32 v27, v27, v79
	ds_write_b16 v89, v25
	ds_write_b16 v89, v28 offset:60
	ds_write_b16 v89, v31 offset:120
	ds_write_b16 v89, v24 offset:180
	ds_write_b16 v89, v26 offset:240
	v_mul_u32_u24_e32 v24, 0x12c, v98
	v_lshlrev_b32_sdwa v25, v49, v99 dst_sel:DWORD dst_unused:UNUSED_PAD src0_sel:DWORD src1_sel:BYTE_0
	v_add_f16_e32 v27, v27, v81
	v_add_f16_e32 v32, v32, v70
	v_add3_u32 v90, 0, v24, v25
	v_add_f16_e32 v32, v32, v74
	ds_write_b16 v90, v27
	ds_write_b16 v90, v35 offset:60
	ds_write_b16 v90, v37 offset:120
	;; [unrolled: 1-line block ×4, first 2 shown]
	v_mul_u32_u24_e32 v23, 0x12c, v100
	v_lshlrev_b32_e32 v24, 1, v101
	v_add_f16_e32 v32, v32, v76
	v_fma_f16 v20, v91, s8, v20
	v_add3_u32 v91, 0, v23, v24
	v_add_f16_e32 v38, v38, v63
	ds_write_b16 v91, v32
	ds_write_b16 v91, v39 offset:60
	ds_write_b16 v91, v41 offset:120
	;; [unrolled: 1-line block ×4, first 2 shown]
	v_mul_u32_u24_e32 v21, 0x12c, v102
	v_lshlrev_b32_e32 v23, 1, v103
	v_add_f16_e32 v38, v38, v66
	v_add3_u32 v93, 0, v21, v23
	v_mul_u32_u24_e32 v21, 0x12c, v104
	v_lshlrev_b32_e32 v23, 1, v105
	v_add_f16_e32 v38, v38, v69
	v_add3_u32 v94, 0, v21, v23
	ds_write_b16 v93, v38
	ds_write_b16 v93, v44 offset:60
	ds_write_b16 v93, v48 offset:120
	ds_write_b16 v93, v42 offset:180
	ds_write_b16 v93, v40 offset:240
	ds_write_b16 v94, v45
	ds_write_b16 v94, v92 offset:60
	ds_write_b16 v94, v95 offset:120
	;; [unrolled: 1-line block ×4, first 2 shown]
	s_waitcnt lgkmcnt(0)
	s_barrier
	ds_read_u16 v27, v0
	ds_read_u16 v26, v0 offset:360
	ds_read_u16 v25, v0 offset:540
	;; [unrolled: 1-line block ×21, first 2 shown]
	ds_read_u16 v28, v9
	ds_read_u16 v31, v0 offset:4260
	v_lshl_add_u32 v92, v7, 1, 0
	s_and_saveexec_b64 s[2:3], s[0:1]
	s_cbranch_execz .LBB0_29
; %bb.28:
	ds_read_u16 v16, v0 offset:2940
	ds_read_u16 v19, v92 offset:1440
	ds_read_u16 v15, v0 offset:4440
.LBB0_29:
	s_or_b64 exec, exec, s[2:3]
	v_add_f16_e32 v96, v82, v83
	v_fma_f16 v96, v96, -0.5, v47
	v_sub_f16_e32 v85, v85, v88
	v_fma_f16 v88, v85, s9, v96
	v_sub_f16_e32 v86, v86, v87
	v_add_f16_e32 v95, v47, v80
	v_fma_f16 v87, v86, s14, v88
	v_sub_f16_e32 v88, v80, v82
	v_sub_f16_e32 v97, v84, v83
	v_fma_f16 v96, v85, s7, v96
	v_add_f16_e32 v95, v95, v82
	v_add_f16_e32 v88, v88, v97
	v_fma_f16 v96, v86, s6, v96
	v_add_f16_e32 v95, v95, v83
	v_fma_f16 v87, v88, s8, v87
	v_fma_f16 v88, v88, s8, v96
	v_add_f16_e32 v96, v80, v84
	v_sub_f16_e32 v80, v82, v80
	v_sub_f16_e32 v82, v83, v84
	v_add_f16_e32 v83, v72, v73
	v_fma_f16 v47, v96, -0.5, v47
	v_fma_f16 v83, v83, -0.5, v43
	v_sub_f16_e32 v77, v77, v81
	v_fma_f16 v96, v86, s7, v47
	v_fma_f16 v47, v86, s9, v47
	;; [unrolled: 1-line block ×3, first 2 shown]
	v_sub_f16_e32 v78, v78, v79
	v_add_f16_e32 v95, v95, v84
	v_fma_f16 v96, v85, s14, v96
	v_add_f16_e32 v80, v80, v82
	v_fma_f16 v47, v85, s6, v47
	v_fma_f16 v79, v78, s14, v81
	v_sub_f16_e32 v81, v71, v72
	v_sub_f16_e32 v84, v75, v73
	v_fma_f16 v83, v77, s7, v83
	v_fma_f16 v82, v80, s8, v96
	;; [unrolled: 1-line block ×3, first 2 shown]
	v_add_f16_e32 v80, v43, v71
	v_add_f16_e32 v81, v81, v84
	v_fma_f16 v83, v78, s6, v83
	v_add_f16_e32 v80, v80, v72
	v_fma_f16 v79, v81, s8, v79
	v_fma_f16 v81, v81, s8, v83
	v_add_f16_e32 v83, v71, v75
	v_add_f16_e32 v80, v80, v73
	v_fma_f16 v43, v83, -0.5, v43
	v_sub_f16_e32 v71, v72, v71
	v_sub_f16_e32 v72, v73, v75
	v_add_f16_e32 v73, v64, v65
	v_fma_f16 v83, v78, s7, v43
	v_fma_f16 v43, v78, s9, v43
	v_fma_f16 v73, v73, -0.5, v34
	v_sub_f16_e32 v68, v68, v76
	v_add_f16_e32 v80, v80, v75
	v_fma_f16 v83, v77, s14, v83
	v_add_f16_e32 v71, v71, v72
	v_fma_f16 v43, v77, s6, v43
	v_fma_f16 v75, v68, s9, v73
	v_sub_f16_e32 v70, v70, v74
	v_fma_f16 v72, v71, s8, v83
	v_fma_f16 v43, v71, s8, v43
	v_add_f16_e32 v71, v34, v60
	v_fma_f16 v74, v70, s14, v75
	v_sub_f16_e32 v75, v60, v64
	v_sub_f16_e32 v76, v67, v65
	v_fma_f16 v73, v68, s7, v73
	v_add_f16_e32 v71, v71, v64
	v_add_f16_e32 v75, v75, v76
	v_fma_f16 v73, v70, s6, v73
	v_add_f16_e32 v71, v71, v65
	v_fma_f16 v74, v75, s8, v74
	v_fma_f16 v73, v75, s8, v73
	v_add_f16_e32 v75, v60, v67
	v_sub_f16_e32 v60, v64, v60
	v_sub_f16_e32 v64, v65, v67
	v_add_f16_e32 v65, v56, v57
	v_fma_f16 v34, v75, -0.5, v34
	v_fma_f16 v65, v65, -0.5, v22
	v_sub_f16_e32 v61, v61, v69
	v_add_f16_e32 v71, v71, v67
	v_fma_f16 v75, v70, s7, v34
	v_fma_f16 v34, v70, s9, v34
	v_fma_f16 v67, v61, s9, v65
	v_sub_f16_e32 v63, v63, v66
	v_fma_f16 v75, v68, s14, v75
	v_fma_f16 v34, v68, s6, v34
	;; [unrolled: 1-line block ×3, first 2 shown]
	v_sub_f16_e32 v67, v53, v56
	v_sub_f16_e32 v68, v59, v57
	v_fma_f16 v65, v61, s7, v65
	v_add_f16_e32 v67, v67, v68
	v_fma_f16 v65, v63, s6, v65
	v_add_f16_e32 v60, v60, v64
	v_fma_f16 v66, v67, s8, v66
	v_fma_f16 v65, v67, s8, v65
	v_add_f16_e32 v67, v53, v59
	v_fma_f16 v64, v60, s8, v75
	v_fma_f16 v34, v60, s8, v34
	v_add_f16_e32 v60, v22, v53
	v_fma_f16 v22, v67, -0.5, v22
	v_add_f16_e32 v60, v60, v56
	v_fma_f16 v67, v63, s7, v22
	v_sub_f16_e32 v53, v56, v53
	v_sub_f16_e32 v56, v57, v59
	v_fma_f16 v22, v63, s9, v22
	v_fma_f16 v67, v61, s14, v67
	v_add_f16_e32 v53, v53, v56
	v_fma_f16 v22, v61, s6, v22
	v_fma_f16 v56, v53, s8, v67
	;; [unrolled: 1-line block ×3, first 2 shown]
	v_add_f16_e32 v22, v29, v46
	v_add_f16_e32 v22, v22, v50
	;; [unrolled: 1-line block ×6, first 2 shown]
	v_fma_f16 v22, v22, -0.5, v29
	v_sub_f16_e32 v54, v54, v62
	v_add_f16_e32 v60, v60, v59
	v_fma_f16 v59, v54, s9, v22
	v_sub_f16_e32 v55, v55, v58
	v_fma_f16 v58, v55, s14, v59
	v_sub_f16_e32 v59, v46, v50
	v_sub_f16_e32 v61, v52, v51
	v_fma_f16 v22, v54, s7, v22
	v_add_f16_e32 v59, v59, v61
	v_fma_f16 v22, v55, s6, v22
	v_fma_f16 v58, v59, s8, v58
	;; [unrolled: 1-line block ×3, first 2 shown]
	v_add_f16_e32 v59, v46, v52
	v_fma_f16 v29, v59, -0.5, v29
	v_fma_f16 v59, v55, s7, v29
	v_sub_f16_e32 v46, v50, v46
	v_sub_f16_e32 v50, v51, v52
	v_fma_f16 v29, v55, s9, v29
	v_fma_f16 v59, v54, s14, v59
	v_add_f16_e32 v46, v46, v50
	v_fma_f16 v29, v54, s6, v29
	v_fma_f16 v50, v46, s8, v59
	;; [unrolled: 1-line block ×3, first 2 shown]
	s_waitcnt lgkmcnt(0)
	s_barrier
	ds_write_b16 v89, v95
	ds_write_b16 v89, v87 offset:60
	ds_write_b16 v89, v82 offset:120
	ds_write_b16 v89, v47 offset:180
	ds_write_b16 v89, v88 offset:240
	ds_write_b16 v90, v80
	ds_write_b16 v90, v79 offset:60
	ds_write_b16 v90, v72 offset:120
	ds_write_b16 v90, v43 offset:180
	ds_write_b16 v90, v81 offset:240
	;; [unrolled: 5-line block ×5, first 2 shown]
	s_waitcnt lgkmcnt(0)
	s_barrier
	ds_read_u16 v51, v0
	ds_read_u16 v50, v0 offset:360
	ds_read_u16 v47, v0 offset:540
	;; [unrolled: 1-line block ×21, first 2 shown]
	ds_read_u16 v52, v9
	ds_read_u16 v54, v0 offset:4260
	s_and_saveexec_b64 s[2:3], s[0:1]
	s_cbranch_execz .LBB0_31
; %bb.30:
	ds_read_u16 v18, v0 offset:2940
	ds_read_u16 v22, v92 offset:1440
	;; [unrolled: 1-line block ×3, first 2 shown]
.LBB0_31:
	s_or_b64 exec, exec, s[2:3]
	v_lshlrev_b32_e32 v71, 1, v7
	v_mov_b32_e32 v72, 0
	v_lshlrev_b64 v[69:70], 2, v[71:72]
	v_mov_b32_e32 v78, s13
	v_add_co_u32_e64 v69, s[2:3], s12, v69
	v_addc_co_u32_e64 v70, s[2:3], v78, v70, s[2:3]
	v_subrev_u32_e32 v73, 60, v7
	v_cmp_gt_u32_e64 s[2:3], 60, v7
	v_cndmask_b32_e64 v73, v73, v8, s[2:3]
	v_lshlrev_b32_e32 v73, 1, v73
	v_mov_b32_e32 v74, v72
	v_lshlrev_b64 v[74:75], 2, v[73:74]
	v_add_u32_e32 v76, 60, v71
	v_mov_b32_e32 v77, v72
	v_add_co_u32_e64 v74, s[2:3], s12, v74
	v_lshlrev_b64 v[76:77], 2, v[76:77]
	v_addc_co_u32_e64 v75, s[2:3], v78, v75, s[2:3]
	v_lshrrev_b16_e32 v72, 1, v11
	global_load_dwordx2 v[69:70], v[69:70], off offset:560
	v_add_co_u32_e64 v76, s[2:3], s12, v76
	v_mul_u32_u24_e32 v72, 0xda75, v72
	v_lshrrev_b16_e32 v82, 1, v6
	global_load_dwordx2 v[74:75], v[74:75], off offset:560
	v_addc_co_u32_e64 v77, s[2:3], v78, v77, s[2:3]
	v_lshrrev_b32_e32 v72, 22, v72
	v_mul_u32_u24_e32 v82, 0xda75, v82
	global_load_dwordx2 v[76:77], v[76:77], off offset:560
	v_mul_lo_u16_e32 v78, 0x96, v72
	v_lshrrev_b32_e32 v82, 22, v82
	v_sub_u16_e32 v90, v11, v78
	v_lshrrev_b16_e32 v80, 1, v5
	v_mul_lo_u16_e32 v82, 0x96, v82
	v_lshlrev_b32_e32 v78, 3, v90
	global_load_dwordx2 v[78:79], v78, s[12:13] offset:560
	v_mul_u32_u24_e32 v80, 0xda75, v80
	v_sub_u16_e32 v92, v6, v82
	v_lshrrev_b32_e32 v80, 22, v80
	v_lshlrev_b32_e32 v6, 3, v92
	global_load_dwordx2 v[82:83], v6, s[12:13] offset:560
	v_mul_lo_u16_e32 v80, 0x96, v80
	v_lshrrev_b16_e32 v6, 1, v12
	v_sub_u16_e32 v91, v5, v80
	v_mul_u32_u24_e32 v6, 0xda75, v6
	v_lshlrev_b32_e32 v80, 3, v91
	v_lshrrev_b32_e32 v93, 22, v6
	global_load_dwordx2 v[80:81], v80, s[12:13] offset:560
	v_mul_lo_u16_e32 v6, 0x96, v93
	v_sub_u16_e32 v6, v12, v6
	v_lshlrev_b32_e32 v12, 3, v6
	global_load_dwordx2 v[84:85], v12, s[12:13] offset:560
	v_lshrrev_b16_e32 v12, 1, v13
	v_mul_u32_u24_e32 v12, 0xda75, v12
	v_lshrrev_b32_e32 v12, 22, v12
	v_mul_lo_u16_e32 v12, 0x96, v12
	v_sub_u16_e32 v94, v13, v12
	v_lshlrev_b32_e32 v12, 3, v94
	global_load_dwordx2 v[86:87], v12, s[12:13] offset:560
	v_lshrrev_b16_e32 v12, 1, v14
	v_mul_u32_u24_e32 v12, 0xda75, v12
	v_lshrrev_b32_e32 v12, 22, v12
	v_mul_lo_u16_e32 v12, 0x96, v12
	v_sub_u16_e32 v95, v14, v12
	v_lshlrev_b32_e32 v12, 3, v95
	global_load_dwordx2 v[88:89], v12, s[12:13] offset:560
	s_mov_b32 s6, 0xbaee
	s_movk_i32 s7, 0x3aee
	s_waitcnt vmcnt(0) lgkmcnt(0)
	s_barrier
	v_cmp_lt_u32_e64 s[2:3], 59, v7
	v_mul_f16_sdwa v14, v48, v69 dst_sel:DWORD dst_unused:UNUSED_PAD src0_sel:DWORD src1_sel:WORD_1
	v_mul_f16_sdwa v12, v67, v69 dst_sel:DWORD dst_unused:UNUSED_PAD src0_sel:DWORD src1_sel:WORD_1
	;; [unrolled: 1-line block ×4, first 2 shown]
	v_fma_f16 v67, v67, v69, -v14
	v_mul_f16_sdwa v14, v44, v74 dst_sel:DWORD dst_unused:UNUSED_PAD src0_sel:DWORD src1_sel:WORD_1
	v_fma_f16 v13, v48, v69, v12
	v_fma_f16 v48, v49, v70, v96
	v_fma_f16 v68, v68, v70, -v97
	v_mul_f16_sdwa v70, v66, v75 dst_sel:DWORD dst_unused:UNUSED_PAD src0_sel:DWORD src1_sel:WORD_1
	v_fma_f16 v69, v65, v74, -v14
	v_mul_f16_sdwa v14, v41, v76 dst_sel:DWORD dst_unused:UNUSED_PAD src0_sel:DWORD src1_sel:WORD_1
	v_mul_f16_sdwa v12, v65, v74 dst_sel:DWORD dst_unused:UNUSED_PAD src0_sel:DWORD src1_sel:WORD_1
	;; [unrolled: 1-line block ×3, first 2 shown]
	v_fma_f16 v65, v45, v75, v70
	v_fma_f16 v45, v63, v76, -v14
	v_mul_f16_sdwa v14, v64, v77 dst_sel:DWORD dst_unused:UNUSED_PAD src0_sel:DWORD src1_sel:WORD_1
	v_mul_f16_sdwa v97, v63, v76 dst_sel:DWORD dst_unused:UNUSED_PAD src0_sel:DWORD src1_sel:WORD_1
	v_fma_f16 v63, v42, v77, v14
	v_mul_f16_sdwa v14, v42, v77 dst_sel:DWORD dst_unused:UNUSED_PAD src0_sel:DWORD src1_sel:WORD_1
	v_fma_f16 v70, v64, v77, -v14
	v_mul_f16_sdwa v14, v61, v78 dst_sel:DWORD dst_unused:UNUSED_PAD src0_sel:DWORD src1_sel:WORD_1
	v_fma_f16 v14, v39, v78, v14
	v_mul_f16_sdwa v39, v39, v78 dst_sel:DWORD dst_unused:UNUSED_PAD src0_sel:DWORD src1_sel:WORD_1
	v_fma_f16 v61, v61, v78, -v39
	;; [unrolled: 4-line block ×6, first 2 shown]
	v_mul_f16_sdwa v35, v58, v83 dst_sel:DWORD dst_unused:UNUSED_PAD src0_sel:DWORD src1_sel:WORD_1
	v_fma_f16 v66, v66, v75, -v96
	v_fma_f16 v57, v36, v83, v35
	v_mul_f16_sdwa v35, v36, v83 dst_sel:DWORD dst_unused:UNUSED_PAD src0_sel:DWORD src1_sel:WORD_1
	v_lshlrev_b32_e32 v75, 1, v6
	v_mul_f16_sdwa v6, v53, v84 dst_sel:DWORD dst_unused:UNUSED_PAD src0_sel:DWORD src1_sel:WORD_1
	v_fma_f16 v58, v58, v83, -v35
	v_fma_f16 v35, v30, v84, v6
	v_mul_f16_sdwa v6, v30, v84 dst_sel:DWORD dst_unused:UNUSED_PAD src0_sel:DWORD src1_sel:WORD_1
	v_fma_f16 v36, v53, v84, -v6
	v_mul_f16_sdwa v6, v55, v85 dst_sel:DWORD dst_unused:UNUSED_PAD src0_sel:DWORD src1_sel:WORD_1
	v_fma_f16 v53, v32, v85, v6
	v_mul_f16_sdwa v6, v32, v85 dst_sel:DWORD dst_unused:UNUSED_PAD src0_sel:DWORD src1_sel:WORD_1
	v_fma_f16 v55, v55, v85, -v6
	v_mul_f16_sdwa v6, v56, v86 dst_sel:DWORD dst_unused:UNUSED_PAD src0_sel:DWORD src1_sel:WORD_1
	;; [unrolled: 4-line block ×4, first 2 shown]
	v_fma_f16 v6, v16, v88, v6
	v_mul_f16_sdwa v16, v16, v88 dst_sel:DWORD dst_unused:UNUSED_PAD src0_sel:DWORD src1_sel:WORD_1
	v_fma_f16 v49, v44, v74, v12
	v_fma_f16 v12, v41, v76, v97
	v_fma_f16 v41, v18, v88, -v16
	v_mul_f16_sdwa v16, v17, v89 dst_sel:DWORD dst_unused:UNUSED_PAD src0_sel:DWORD src1_sel:WORD_1
	v_fma_f16 v42, v15, v89, v16
	v_mul_f16_sdwa v15, v15, v89 dst_sel:DWORD dst_unused:UNUSED_PAD src0_sel:DWORD src1_sel:WORD_1
	v_add_f16_e32 v16, v13, v48
	v_fma_f16 v44, v17, v89, -v15
	v_add_f16_e32 v15, v27, v13
	v_fma_f16 v16, v16, -0.5, v27
	v_sub_f16_e32 v17, v67, v68
	v_add_f16_e32 v27, v49, v65
	v_fma_f16 v18, v17, s6, v16
	v_fma_f16 v16, v17, s7, v16
	v_add_f16_e32 v17, v28, v49
	v_fma_f16 v27, v27, -0.5, v28
	v_sub_f16_e32 v28, v69, v66
	v_add_f16_e32 v56, v12, v63
	v_fma_f16 v54, v28, s6, v27
	v_fma_f16 v27, v28, s7, v27
	;; [unrolled: 6-line block ×3, first 2 shown]
	v_add_f16_e32 v56, v25, v14
	v_fma_f16 v25, v77, -0.5, v25
	v_sub_f16_e32 v77, v61, v62
	v_fma_f16 v78, v77, s6, v25
	v_fma_f16 v77, v77, s7, v25
	v_add_f16_e32 v25, v24, v39
	v_add_f16_e32 v79, v25, v59
	v_add_f16_e32 v25, v39, v59
	v_fma_f16 v24, v25, -0.5, v24
	v_sub_f16_e32 v25, v40, v60
	v_fma_f16 v80, v25, s6, v24
	v_fma_f16 v81, v25, s7, v24
	v_add_f16_e32 v24, v21, v37
	v_add_f16_e32 v82, v24, v57
	v_add_f16_e32 v24, v37, v57
	v_fma_f16 v21, v24, -0.5, v21
	v_sub_f16_e32 v24, v38, v58
	v_fma_f16 v83, v24, s6, v21
	v_fma_f16 v21, v24, s7, v21
	v_add_f16_e32 v24, v20, v35
	v_add_f16_e32 v84, v24, v53
	v_add_f16_e32 v24, v35, v53
	v_fma_f16 v20, v24, -0.5, v20
	v_sub_f16_e32 v24, v36, v55
	v_add_f16_e32 v15, v15, v48
	v_fma_f16 v85, v24, s6, v20
	v_fma_f16 v20, v24, s7, v20
	v_add_f16_e32 v24, v23, v30
	v_add_f16_e32 v86, v24, v33
	;; [unrolled: 1-line block ×3, first 2 shown]
	ds_write_b16 v0, v15
	ds_write_b16 v0, v18 offset:300
	ds_write_b16 v0, v16 offset:600
	v_mov_b32_e32 v15, 0x384
	v_fma_f16 v23, v24, -0.5, v23
	v_sub_f16_e32 v24, v32, v31
	v_cndmask_b32_e64 v15, 0, v15, s[2:3]
	v_lshlrev_b32_e32 v74, 1, v90
	v_add_f16_e32 v17, v17, v65
	v_fma_f16 v87, v24, s6, v23
	v_fma_f16 v23, v24, s7, v23
	v_add3_u32 v24, 0, v15, v73
	v_mul_u32_u24_e32 v15, 0x384, v72
	v_add_f16_e32 v28, v28, v63
	v_add_f16_e32 v56, v56, v64
	ds_write_b16 v24, v17
	ds_write_b16 v24, v54 offset:300
	ds_write_b16 v24, v27 offset:600
	v_add_u32_e32 v25, 0, v71
	v_add3_u32 v54, 0, v15, v74
	v_mul_u32_u24_e32 v15, 0x384, v93
	ds_write_b16 v25, v28 offset:960
	ds_write_b16 v25, v76 offset:1260
	;; [unrolled: 1-line block ×3, first 2 shown]
	ds_write_b16 v54, v56
	ds_write_b16 v54, v78 offset:300
	ds_write_b16 v54, v77 offset:600
	v_lshl_add_u32 v56, v91, 1, 0
	v_lshl_add_u32 v71, v92, 1, 0
	v_add3_u32 v72, 0, v15, v75
	v_lshl_add_u32 v73, v94, 1, 0
	ds_write_b16 v56, v79 offset:1800
	ds_write_b16 v56, v80 offset:2100
	;; [unrolled: 1-line block ×6, first 2 shown]
	ds_write_b16 v72, v84
	ds_write_b16 v72, v85 offset:300
	ds_write_b16 v72, v20 offset:600
	;; [unrolled: 1-line block ×5, first 2 shown]
	v_lshl_add_u32 v23, v95, 1, 0
	s_and_saveexec_b64 s[2:3], s[0:1]
	s_cbranch_execz .LBB0_33
; %bb.32:
	v_add_f16_e32 v15, v6, v42
	v_fma_f16 v15, v15, -0.5, v19
	v_sub_f16_e32 v16, v41, v44
	v_fma_f16 v17, v16, s7, v15
	v_fma_f16 v15, v16, s6, v15
	v_add_f16_e32 v16, v19, v6
	v_add_f16_e32 v16, v16, v42
	ds_write_b16 v23, v16 offset:3600
	ds_write_b16 v23, v15 offset:3900
	;; [unrolled: 1-line block ×3, first 2 shown]
.LBB0_33:
	s_or_b64 exec, exec, s[2:3]
	v_add_f16_e32 v15, v51, v67
	v_add_f16_e32 v74, v15, v68
	v_add_f16_e32 v15, v67, v68
	v_fma_f16 v15, v15, -0.5, v51
	v_sub_f16_e32 v13, v13, v48
	v_fma_f16 v48, v13, s7, v15
	v_fma_f16 v51, v13, s6, v15
	v_add_f16_e32 v13, v52, v69
	v_add_f16_e32 v67, v13, v66
	v_add_f16_e32 v13, v69, v66
	v_fma_f16 v13, v13, -0.5, v52
	v_sub_f16_e32 v15, v49, v65
	v_fma_f16 v49, v15, s7, v13
	v_fma_f16 v52, v15, s6, v13
	v_add_f16_e32 v13, v50, v45
	v_add_f16_e32 v65, v13, v70
	v_add_f16_e32 v13, v45, v70
	v_fma_f16 v13, v13, -0.5, v50
	v_sub_f16_e32 v12, v12, v63
	v_fma_f16 v45, v12, s7, v13
	v_fma_f16 v50, v12, s6, v13
	v_add_f16_e32 v12, v47, v61
	v_add_f16_e32 v63, v12, v62
	v_add_f16_e32 v12, v61, v62
	v_fma_f16 v12, v12, -0.5, v47
	v_sub_f16_e32 v13, v14, v64
	v_fma_f16 v47, v13, s7, v12
	v_fma_f16 v61, v13, s6, v12
	v_add_f16_e32 v12, v46, v40
	v_add_f16_e32 v62, v12, v60
	v_add_f16_e32 v12, v40, v60
	v_fma_f16 v12, v12, -0.5, v46
	v_sub_f16_e32 v13, v39, v59
	v_fma_f16 v46, v13, s7, v12
	v_fma_f16 v59, v13, s6, v12
	v_add_f16_e32 v12, v34, v38
	v_add_f16_e32 v60, v12, v58
	v_add_f16_e32 v12, v38, v58
	v_fma_f16 v12, v12, -0.5, v34
	v_sub_f16_e32 v13, v37, v57
	v_fma_f16 v57, v13, s7, v12
	v_fma_f16 v58, v13, s6, v12
	v_add_f16_e32 v12, v29, v36
	v_add_f16_e32 v64, v12, v55
	v_add_f16_e32 v12, v36, v55
	v_fma_f16 v12, v12, -0.5, v29
	v_sub_f16_e32 v13, v35, v53
	v_fma_f16 v53, v13, s7, v12
	v_fma_f16 v55, v13, s6, v12
	v_add_f16_e32 v12, v43, v32
	v_add_f16_e32 v66, v12, v31
	v_add_f16_e32 v12, v32, v31
	v_fma_f16 v12, v12, -0.5, v43
	v_sub_f16_e32 v13, v30, v33
	v_fma_f16 v43, v13, s7, v12
	v_fma_f16 v68, v13, s6, v12
	s_waitcnt lgkmcnt(0)
	s_barrier
	ds_read_u16 v18, v9
	ds_read_u16 v26, v0 offset:2880
	ds_read_u16 v12, v0
	ds_read_u16 v31, v0 offset:360
	ds_read_u16 v40, v0 offset:540
	;; [unrolled: 1-line block ×22, first 2 shown]
	s_waitcnt lgkmcnt(0)
	s_barrier
	ds_write_b16 v0, v74
	ds_write_b16 v0, v48 offset:300
	ds_write_b16 v0, v51 offset:600
	ds_write_b16 v24, v67
	ds_write_b16 v24, v49 offset:300
	ds_write_b16 v24, v52 offset:600
	;; [unrolled: 1-line block ×5, first 2 shown]
	ds_write_b16 v54, v63
	ds_write_b16 v54, v47 offset:300
	ds_write_b16 v54, v61 offset:600
	;; [unrolled: 1-line block ×8, first 2 shown]
	ds_write_b16 v72, v64
	ds_write_b16 v72, v53 offset:300
	ds_write_b16 v72, v55 offset:600
	;; [unrolled: 1-line block ×5, first 2 shown]
	s_and_saveexec_b64 s[2:3], s[0:1]
	s_cbranch_execz .LBB0_35
; %bb.34:
	v_add_f16_e32 v25, v41, v44
	v_add_f16_e32 v24, v22, v41
	v_fma_f16 v22, v25, -0.5, v22
	v_sub_f16_e32 v6, v6, v42
	s_movk_i32 s0, 0x3aee
	v_add_f16_e32 v24, v24, v44
	v_fma_f16 v25, v6, s0, v22
	s_mov_b32 s0, 0xbaee
	v_fma_f16 v6, v6, s0, v22
	ds_write_b16 v23, v24 offset:3600
	ds_write_b16 v23, v25 offset:3900
	;; [unrolled: 1-line block ×3, first 2 shown]
.LBB0_35:
	s_or_b64 exec, exec, s[2:3]
	s_waitcnt lgkmcnt(0)
	s_barrier
	s_and_saveexec_b64 s[0:1], vcc
	s_cbranch_execz .LBB0_37
; %bb.36:
	v_lshlrev_b32_e32 v5, 2, v5
	v_mov_b32_e32 v6, 0
	v_lshlrev_b64 v[22:23], 2, v[5:6]
	v_mov_b32_e32 v41, s13
	v_add_co_u32_e32 v22, vcc, s12, v22
	v_addc_co_u32_e32 v23, vcc, v41, v23, vcc
	global_load_dwordx4 v[22:25], v[22:23], off offset:1760
	v_lshlrev_b32_e32 v5, 2, v11
	v_lshlrev_b64 v[42:43], 2, v[5:6]
	ds_read_u16 v48, v0 offset:1620
	v_add_co_u32_e32 v42, vcc, s12, v42
	v_addc_co_u32_e32 v43, vcc, v41, v43, vcc
	ds_read_u16 v49, v0 offset:4320
	ds_read_u16 v50, v0 offset:4140
	;; [unrolled: 1-line block ×13, first 2 shown]
	global_load_dwordx4 v[42:45], v[42:43], off offset:1760
	v_mul_lo_u32 v46, s5, v3
	v_mul_lo_u32 v47, s4, v4
	v_mad_u64_u32 v[3:4], s[0:1], s4, v3, 0
	ds_read_u16 v62, v0 offset:2880
	ds_read_u16 v63, v0 offset:2700
	;; [unrolled: 1-line block ×7, first 2 shown]
	s_movk_i32 s3, 0x3b9c
	v_add3_u32 v4, v4, v47, v46
	s_mov_b32 s2, 0xbb9c
	s_mov_b32 s0, 0xb8b4
	s_movk_i32 s4, 0x38b4
	s_movk_i32 s1, 0x34f2
	v_lshlrev_b64 v[3:4], 2, v[3:4]
	ds_read_u16 v9, v9
	s_waitcnt vmcnt(1)
	v_mul_f16_sdwa v11, v14, v23 dst_sel:DWORD dst_unused:UNUSED_PAD src0_sel:DWORD src1_sel:WORD_1
	v_mul_f16_sdwa v46, v13, v22 dst_sel:DWORD dst_unused:UNUSED_PAD src0_sel:DWORD src1_sel:WORD_1
	;; [unrolled: 1-line block ×4, first 2 shown]
	s_waitcnt lgkmcnt(5)
	v_mul_f16_sdwa v69, v5, v23 dst_sel:DWORD dst_unused:UNUSED_PAD src0_sel:DWORD src1_sel:WORD_1
	v_mul_f16_sdwa v70, v51, v24 dst_sel:DWORD dst_unused:UNUSED_PAD src0_sel:DWORD src1_sel:WORD_1
	;; [unrolled: 1-line block ×4, first 2 shown]
	v_fma_f16 v5, v23, v5, -v11
	v_fma_f16 v46, v22, v48, -v46
	;; [unrolled: 1-line block ×4, first 2 shown]
	v_fma_f16 v49, v14, v23, v69
	v_fma_f16 v51, v17, v24, v70
	;; [unrolled: 1-line block ×4, first 2 shown]
	v_sub_f16_e32 v11, v5, v46
	v_sub_f16_e32 v13, v47, v48
	v_add_f16_e32 v15, v46, v48
	v_sub_f16_e32 v22, v46, v5
	v_sub_f16_e32 v23, v48, v47
	v_add_f16_e32 v24, v5, v47
	;; [unrolled: 3-line block ×3, first 2 shown]
	v_add_f16_e32 v11, v11, v13
	v_fma_f16 v13, v15, -0.5, v60
	v_add_f16_e32 v15, v22, v23
	v_fma_f16 v22, v24, -0.5, v60
	v_add_f16_e32 v23, v5, v25
	v_fma_f16 v24, v14, s3, v13
	v_fma_f16 v13, v14, s2, v13
	v_fma_f16 v25, v17, s2, v22
	v_fma_f16 v22, v17, s3, v22
	v_add_f16_e32 v23, v47, v23
	v_fma_f16 v60, v17, s0, v24
	v_fma_f16 v17, v17, s4, v13
	v_fma_f16 v25, v14, s0, v25
	v_fma_f16 v14, v14, s4, v22
	;; [unrolled: 5-line block ×3, first 2 shown]
	v_sub_f16_e32 v14, v49, v68
	v_sub_f16_e32 v15, v51, v69
	v_add_f16_e32 v15, v14, v15
	v_add_f16_e32 v14, v68, v69
	v_fma_f16 v22, v14, -0.5, v28
	v_sub_f16_e32 v5, v5, v47
	v_sub_f16_e32 v25, v46, v48
	v_fma_f16 v14, v5, s2, v22
	v_fma_f16 v22, v5, s3, v22
	;; [unrolled: 1-line block ×6, first 2 shown]
	v_sub_f16_e32 v15, v68, v49
	v_sub_f16_e32 v46, v69, v51
	v_add_f16_e32 v46, v15, v46
	v_add_f16_e32 v15, v49, v51
	v_fma_f16 v47, v15, -0.5, v28
	v_fma_f16 v15, v25, s3, v47
	v_fma_f16 v25, v25, s2, v47
	;; [unrolled: 1-line block ×5, first 2 shown]
	v_add_f16_e32 v5, v28, v68
	v_add_f16_e32 v5, v49, v5
	;; [unrolled: 1-line block ×4, first 2 shown]
	s_waitcnt vmcnt(0)
	v_mul_f16_sdwa v5, v34, v43 dst_sel:DWORD dst_unused:UNUSED_PAD src0_sel:DWORD src1_sel:WORD_1
	s_waitcnt lgkmcnt(4)
	v_fma_f16 v51, v43, v64, -v5
	v_lshlrev_b32_e32 v5, 2, v10
	v_fma_f16 v15, v46, s1, v15
	v_lshlrev_b64 v[46:47], 2, v[5:6]
	v_mul_f16_sdwa v64, v64, v43 dst_sel:DWORD dst_unused:UNUSED_PAD src0_sel:DWORD src1_sel:WORD_1
	v_add_co_u32_e32 v46, vcc, s12, v46
	v_addc_co_u32_e32 v47, vcc, v41, v47, vcc
	global_load_dwordx4 v[46:49], v[46:47], off offset:1760
	v_mul_f16_sdwa v5, v33, v42 dst_sel:DWORD dst_unused:UNUSED_PAD src0_sel:DWORD src1_sel:WORD_1
	v_mul_f16_sdwa v60, v36, v44 dst_sel:DWORD dst_unused:UNUSED_PAD src0_sel:DWORD src1_sel:WORD_1
	;; [unrolled: 1-line block ×3, first 2 shown]
	v_fma_f16 v64, v34, v43, v64
	v_mul_f16_sdwa v34, v52, v44 dst_sel:DWORD dst_unused:UNUSED_PAD src0_sel:DWORD src1_sel:WORD_1
	v_fma_f16 v5, v42, v53, -v5
	v_fma_f16 v60, v44, v52, -v60
	;; [unrolled: 1-line block ×3, first 2 shown]
	v_fma_f16 v52, v36, v44, v34
	v_mul_f16_sdwa v44, v53, v42 dst_sel:DWORD dst_unused:UNUSED_PAD src0_sel:DWORD src1_sel:WORD_1
	v_add_f16_e32 v36, v5, v69
	v_fma_f16 v53, v33, v42, v44
	v_mul_f16_sdwa v33, v50, v45 dst_sel:DWORD dst_unused:UNUSED_PAD src0_sel:DWORD src1_sel:WORD_1
	v_sub_f16_e32 v34, v64, v52
	v_fma_f16 v36, v36, -0.5, v61
	v_fma_f16 v50, v39, v45, v33
	v_sub_f16_e32 v10, v51, v5
	v_sub_f16_e32 v70, v60, v69
	v_fma_f16 v43, v34, s3, v36
	v_sub_f16_e32 v39, v53, v50
	v_fma_f16 v36, v34, s2, v36
	v_add_f16_e32 v10, v10, v70
	v_fma_f16 v33, v39, s0, v43
	v_fma_f16 v36, v39, s4, v36
	;; [unrolled: 1-line block ×4, first 2 shown]
	v_sub_f16_e32 v10, v5, v51
	v_sub_f16_e32 v42, v69, v60
	v_add_f16_e32 v42, v10, v42
	v_add_f16_e32 v10, v51, v60
	v_fma_f16 v43, v10, -0.5, v61
	v_fma_f16 v10, v39, s2, v43
	v_fma_f16 v39, v39, s3, v43
	;; [unrolled: 1-line block ×5, first 2 shown]
	v_add_f16_e32 v34, v5, v61
	v_add_f16_e32 v34, v51, v34
	;; [unrolled: 1-line block ×4, first 2 shown]
	v_sub_f16_e32 v34, v64, v53
	v_sub_f16_e32 v39, v52, v50
	v_add_f16_e32 v34, v34, v39
	v_add_f16_e32 v39, v53, v50
	v_fma_f16 v10, v42, s1, v10
	v_fma_f16 v42, v39, -0.5, v40
	v_sub_f16_e32 v45, v51, v60
	v_sub_f16_e32 v5, v5, v69
	v_fma_f16 v39, v45, s2, v42
	v_fma_f16 v42, v45, s3, v42
	;; [unrolled: 1-line block ×6, first 2 shown]
	v_sub_f16_e32 v34, v53, v64
	v_sub_f16_e32 v51, v50, v52
	v_add_f16_e32 v51, v34, v51
	v_add_f16_e32 v34, v64, v52
	v_fma_f16 v60, v34, -0.5, v40
	v_fma_f16 v34, v5, s3, v60
	v_fma_f16 v5, v5, s2, v60
	;; [unrolled: 1-line block ×5, first 2 shown]
	v_add_f16_e32 v5, v40, v53
	v_add_f16_e32 v5, v64, v5
	;; [unrolled: 1-line block ×4, first 2 shown]
	v_lshlrev_b32_e32 v5, 2, v8
	v_fma_f16 v34, v51, s1, v34
	v_lshlrev_b64 v[50:51], 2, v[5:6]
	ds_read_u16 v68, v0 offset:3060
	ds_read_u16 v70, v0 offset:360
	v_add_co_u32_e32 v50, vcc, s12, v50
	v_addc_co_u32_e32 v51, vcc, v41, v51, vcc
	global_load_dwordx4 v[50:53], v[50:51], off offset:1760
	ds_read_u16 v0, v0
	s_waitcnt vmcnt(1)
	v_mul_f16_sdwa v5, v37, v47 dst_sel:DWORD dst_unused:UNUSED_PAD src0_sel:DWORD src1_sel:WORD_1
	s_waitcnt lgkmcnt(6)
	v_fma_f16 v5, v47, v65, -v5
	v_mul_f16_sdwa v8, v32, v46 dst_sel:DWORD dst_unused:UNUSED_PAD src0_sel:DWORD src1_sel:WORD_1
	v_mul_f16_sdwa v64, v35, v49 dst_sel:DWORD dst_unused:UNUSED_PAD src0_sel:DWORD src1_sel:WORD_1
	;; [unrolled: 1-line block ×3, first 2 shown]
	v_fma_f16 v8, v46, v57, -v8
	v_mul_f16_sdwa v61, v38, v48 dst_sel:DWORD dst_unused:UNUSED_PAD src0_sel:DWORD src1_sel:WORD_1
	v_fma_f16 v64, v49, v54, -v64
	v_fma_f16 v37, v37, v47, v65
	s_waitcnt lgkmcnt(2)
	v_mul_f16_sdwa v47, v68, v48 dst_sel:DWORD dst_unused:UNUSED_PAD src0_sel:DWORD src1_sel:WORD_1
	v_mul_f16_sdwa v57, v57, v46 dst_sel:DWORD dst_unused:UNUSED_PAD src0_sel:DWORD src1_sel:WORD_1
	v_fma_f16 v61, v48, v68, -v61
	v_fma_f16 v38, v38, v48, v47
	v_add_f16_e32 v48, v8, v64
	v_fma_f16 v32, v32, v46, v57
	v_mul_f16_sdwa v46, v54, v49 dst_sel:DWORD dst_unused:UNUSED_PAD src0_sel:DWORD src1_sel:WORD_1
	v_sub_f16_e32 v47, v37, v38
	s_waitcnt lgkmcnt(1)
	v_fma_f16 v48, v48, -0.5, v70
	v_fma_f16 v35, v35, v49, v46
	v_sub_f16_e32 v60, v5, v8
	v_sub_f16_e32 v69, v61, v64
	v_fma_f16 v65, v47, s3, v48
	v_sub_f16_e32 v46, v32, v35
	v_fma_f16 v48, v47, s2, v48
	v_add_f16_e32 v60, v60, v69
	v_fma_f16 v49, v46, s0, v65
	v_fma_f16 v48, v46, s4, v48
	;; [unrolled: 1-line block ×4, first 2 shown]
	v_sub_f16_e32 v48, v8, v5
	v_sub_f16_e32 v49, v64, v61
	v_add_f16_e32 v48, v48, v49
	v_add_f16_e32 v49, v5, v61
	v_fma_f16 v49, v49, -0.5, v70
	v_fma_f16 v60, v46, s2, v49
	v_fma_f16 v46, v46, s3, v49
	;; [unrolled: 1-line block ×4, first 2 shown]
	v_add_f16_e32 v46, v8, v70
	v_add_f16_e32 v46, v5, v46
	;; [unrolled: 1-line block ×3, first 2 shown]
	v_fma_f16 v60, v47, s0, v60
	v_add_f16_e32 v68, v64, v46
	v_sub_f16_e32 v46, v37, v32
	v_sub_f16_e32 v47, v38, v35
	v_add_f16_e32 v46, v46, v47
	v_add_f16_e32 v47, v32, v35
	v_fma_f16 v47, v47, -0.5, v31
	v_sub_f16_e32 v61, v5, v61
	v_sub_f16_e32 v8, v8, v64
	v_fma_f16 v5, v61, s2, v47
	v_fma_f16 v5, v8, s4, v5
	;; [unrolled: 1-line block ×6, first 2 shown]
	v_sub_f16_e32 v5, v32, v37
	v_sub_f16_e32 v46, v35, v38
	v_add_f16_e32 v70, v5, v46
	v_add_f16_e32 v5, v37, v38
	v_fma_f16 v5, v5, -0.5, v31
	v_fma_f16 v46, v8, s3, v5
	v_fma_f16 v8, v8, s2, v5
	v_lshlrev_b32_e32 v5, 2, v7
	v_lshlrev_b64 v[5:6], 2, v[5:6]
	v_fma_f16 v46, v61, s4, v46
	v_add_co_u32_e32 v5, vcc, s12, v5
	v_addc_co_u32_e32 v6, vcc, v41, v6, vcc
	v_fma_f16 v60, v48, s1, v60
	v_fma_f16 v71, v70, s1, v46
	global_load_dwordx4 v[46:49], v[5:6], off offset:1760
	v_fma_f16 v5, v61, s0, v8
	v_fma_f16 v41, v70, s1, v5
	v_add_f16_e32 v5, v31, v32
	v_add_f16_e32 v5, v37, v5
	;; [unrolled: 1-line block ×4, first 2 shown]
	s_waitcnt vmcnt(1)
	v_mul_f16_sdwa v5, v29, v51 dst_sel:DWORD dst_unused:UNUSED_PAD src0_sel:DWORD src1_sel:WORD_1
	v_mul_f16_sdwa v6, v27, v50 dst_sel:DWORD dst_unused:UNUSED_PAD src0_sel:DWORD src1_sel:WORD_1
	;; [unrolled: 1-line block ×4, first 2 shown]
	v_fma_f16 v5, v51, v66, -v5
	v_fma_f16 v6, v50, v58, -v6
	;; [unrolled: 1-line block ×4, first 2 shown]
	v_sub_f16_e32 v8, v5, v6
	v_sub_f16_e32 v37, v32, v35
	v_add_f16_e32 v8, v8, v37
	v_mul_f16_sdwa v37, v66, v51 dst_sel:DWORD dst_unused:UNUSED_PAD src0_sel:DWORD src1_sel:WORD_1
	v_fma_f16 v29, v29, v51, v37
	v_mul_f16_sdwa v37, v62, v52 dst_sel:DWORD dst_unused:UNUSED_PAD src0_sel:DWORD src1_sel:WORD_1
	v_fma_f16 v26, v26, v52, v37
	v_mul_f16_sdwa v52, v58, v50 dst_sel:DWORD dst_unused:UNUSED_PAD src0_sel:DWORD src1_sel:WORD_1
	v_add_f16_e32 v38, v6, v35
	v_fma_f16 v27, v27, v50, v52
	v_mul_f16_sdwa v50, v55, v53 dst_sel:DWORD dst_unused:UNUSED_PAD src0_sel:DWORD src1_sel:WORD_1
	v_sub_f16_e32 v37, v29, v26
	v_fma_f16 v38, v38, -0.5, v9
	v_fma_f16 v30, v30, v53, v50
	v_fma_f16 v51, v37, s3, v38
	v_sub_f16_e32 v50, v27, v30
	v_fma_f16 v38, v37, s2, v38
	v_fma_f16 v51, v50, s0, v51
	;; [unrolled: 1-line block ×5, first 2 shown]
	v_sub_f16_e32 v8, v6, v5
	v_sub_f16_e32 v52, v35, v32
	v_add_f16_e32 v8, v8, v52
	v_add_f16_e32 v52, v5, v32
	v_fma_f16 v52, v52, -0.5, v9
	v_fma_f16 v53, v50, s2, v52
	v_fma_f16 v50, v50, s3, v52
	;; [unrolled: 1-line block ×6, first 2 shown]
	v_add_f16_e32 v8, v6, v9
	v_add_f16_e32 v8, v5, v8
	;; [unrolled: 1-line block ×4, first 2 shown]
	v_sub_f16_e32 v8, v29, v27
	v_sub_f16_e32 v9, v26, v30
	v_add_f16_e32 v8, v8, v9
	v_add_f16_e32 v9, v27, v30
	v_fma_f16 v9, v9, -0.5, v18
	v_sub_f16_e32 v5, v5, v32
	v_sub_f16_e32 v6, v6, v35
	v_fma_f16 v32, v5, s2, v9
	v_fma_f16 v9, v5, s3, v9
	;; [unrolled: 1-line block ×6, first 2 shown]
	v_sub_f16_e32 v8, v27, v29
	v_sub_f16_e32 v9, v30, v26
	v_add_f16_e32 v8, v8, v9
	v_add_f16_e32 v9, v29, v26
	v_fma_f16 v9, v9, -0.5, v18
	v_fma_f16 v52, v6, s3, v9
	v_fma_f16 v6, v6, s2, v9
	;; [unrolled: 1-line block ×5, first 2 shown]
	v_add_f16_e32 v5, v18, v27
	v_add_f16_e32 v5, v29, v5
	;; [unrolled: 1-line block ×4, first 2 shown]
	v_fma_f16 v52, v8, s1, v52
	s_waitcnt vmcnt(0)
	v_mul_f16_sdwa v5, v21, v47 dst_sel:DWORD dst_unused:UNUSED_PAD src0_sel:DWORD src1_sel:WORD_1
	v_mul_f16_sdwa v6, v16, v46 dst_sel:DWORD dst_unused:UNUSED_PAD src0_sel:DWORD src1_sel:WORD_1
	;; [unrolled: 1-line block ×4, first 2 shown]
	v_fma_f16 v5, v47, v67, -v5
	v_fma_f16 v6, v46, v59, -v6
	;; [unrolled: 1-line block ×4, first 2 shown]
	v_sub_f16_e32 v8, v5, v6
	v_sub_f16_e32 v27, v9, v26
	v_add_f16_e32 v8, v8, v27
	v_mul_f16_sdwa v27, v67, v47 dst_sel:DWORD dst_unused:UNUSED_PAD src0_sel:DWORD src1_sel:WORD_1
	v_fma_f16 v21, v21, v47, v27
	v_mul_f16_sdwa v27, v63, v48 dst_sel:DWORD dst_unused:UNUSED_PAD src0_sel:DWORD src1_sel:WORD_1
	v_mul_f16_sdwa v47, v59, v46 dst_sel:DWORD dst_unused:UNUSED_PAD src0_sel:DWORD src1_sel:WORD_1
	v_fma_f16 v19, v19, v48, v27
	v_add_f16_e32 v29, v6, v26
	v_fma_f16 v16, v16, v46, v47
	v_mul_f16_sdwa v46, v56, v49 dst_sel:DWORD dst_unused:UNUSED_PAD src0_sel:DWORD src1_sel:WORD_1
	v_sub_f16_e32 v27, v21, v19
	s_waitcnt lgkmcnt(0)
	v_fma_f16 v29, v29, -0.5, v0
	v_fma_f16 v20, v20, v49, v46
	v_fma_f16 v30, v27, s3, v29
	v_sub_f16_e32 v46, v16, v20
	v_fma_f16 v29, v27, s2, v29
	v_fma_f16 v30, v46, s0, v30
	;; [unrolled: 1-line block ×5, first 2 shown]
	v_sub_f16_e32 v8, v6, v5
	v_sub_f16_e32 v47, v26, v9
	v_add_f16_e32 v8, v8, v47
	v_add_f16_e32 v47, v5, v9
	v_fma_f16 v47, v47, -0.5, v0
	v_add_f16_e32 v0, v6, v0
	v_fma_f16 v48, v46, s2, v47
	v_fma_f16 v46, v46, s3, v47
	v_add_f16_e32 v0, v5, v0
	v_fma_f16 v48, v27, s0, v48
	v_fma_f16 v27, v27, s4, v46
	;; [unrolled: 3-line block ×3, first 2 shown]
	v_add_f16_e32 v46, v26, v0
	v_sub_f16_e32 v0, v21, v16
	v_sub_f16_e32 v8, v19, v20
	v_add_f16_e32 v0, v0, v8
	v_add_f16_e32 v8, v16, v20
	v_fma_f16 v8, v8, -0.5, v12
	v_sub_f16_e32 v9, v5, v9
	v_sub_f16_e32 v6, v6, v26
	v_fma_f16 v5, v9, s2, v8
	v_fma_f16 v5, v6, s4, v5
	v_fma_f16 v26, v0, s1, v5
	v_fma_f16 v5, v9, s3, v8
	v_fma_f16 v5, v6, s0, v5
	v_fma_f16 v47, v0, s1, v5
	v_sub_f16_e32 v0, v16, v21
	v_sub_f16_e32 v5, v20, v19
	v_add_f16_e32 v0, v0, v5
	v_add_f16_e32 v5, v21, v19
	v_fma_f16 v5, v5, -0.5, v12
	v_fma_f16 v8, v6, s3, v5
	s_mov_b32 s3, 0x91a2b3c5
	v_mul_hi_u32 v49, v7, s3
	v_fma_f16 v8, v9, s4, v8
	v_fma_f16 v56, v0, s1, v8
	;; [unrolled: 1-line block ×3, first 2 shown]
	v_lshrrev_b32_e32 v5, 8, v49
	v_mul_u32_u24_e32 v5, 0x1c2, v5
	v_sub_u32_e32 v49, v7, v5
	v_mad_u64_u32 v[5:6], s[4:5], s20, v49, 0
	v_fma_f16 v8, v9, s0, v8
	v_fma_f16 v58, v0, s1, v8
	v_mov_b32_e32 v0, v6
	v_mad_u64_u32 v[8:9], s[0:1], s21, v49, v[0:1]
	v_add_f16_e32 v12, v12, v16
	v_add_f16_e32 v0, v21, v12
	;; [unrolled: 1-line block ×4, first 2 shown]
	v_mov_b32_e32 v6, v8
	v_mov_b32_e32 v0, s11
	v_add_co_u32_e32 v8, vcc, s10, v3
	v_add_u32_e32 v12, 0x1c2, v49
	v_addc_co_u32_e32 v4, vcc, v0, v4, vcc
	v_lshlrev_b64 v[0:1], 2, v[1:2]
	v_mad_u64_u32 v[2:3], s[0:1], s20, v12, 0
	v_add_co_u32_e32 v8, vcc, v8, v0
	v_addc_co_u32_e32 v16, vcc, v4, v1, vcc
	v_lshlrev_b64 v[0:1], 2, v[5:6]
	v_mad_u64_u32 v[3:4], s[0:1], s21, v12, v[3:4]
	v_add_co_u32_e32 v0, vcc, v8, v0
	v_addc_co_u32_e32 v1, vcc, v16, v1, vcc
	v_pack_b32_f16 v4, v9, v46
	global_store_dword v[0:1], v4, off
	v_add_u32_e32 v4, 0x384, v49
	v_lshlrev_b64 v[0:1], 2, v[2:3]
	v_mad_u64_u32 v[2:3], s[0:1], s20, v4, 0
	v_add_u32_e32 v9, 0x546, v49
	v_add_co_u32_e32 v0, vcc, v8, v0
	v_mad_u64_u32 v[3:4], s[0:1], s21, v4, v[3:4]
	v_mad_u64_u32 v[4:5], s[0:1], s20, v9, 0
	v_addc_co_u32_e32 v1, vcc, v16, v1, vcc
	v_pack_b32_f16 v6, v58, v27
	global_store_dword v[0:1], v6, off
	v_lshlrev_b64 v[0:1], 2, v[2:3]
	v_mov_b32_e32 v2, v5
	v_mad_u64_u32 v[2:3], s[0:1], s21, v9, v[2:3]
	v_add_co_u32_e32 v0, vcc, v8, v0
	v_addc_co_u32_e32 v1, vcc, v16, v1, vcc
	v_pack_b32_f16 v3, v47, v29
	v_mov_b32_e32 v5, v2
	global_store_dword v[0:1], v3, off
	v_lshlrev_b64 v[0:1], 2, v[4:5]
	v_add_u32_e32 v4, 0x708, v49
	v_mad_u64_u32 v[2:3], s[0:1], s20, v4, 0
	v_add_co_u32_e32 v0, vcc, v8, v0
	v_mad_u64_u32 v[3:4], s[0:1], s21, v4, v[3:4]
	v_add_u32_e32 v4, 0x5a, v7
	v_mul_hi_u32 v6, v4, s3
	v_addc_co_u32_e32 v1, vcc, v16, v1, vcc
	v_pack_b32_f16 v5, v26, v30
	global_store_dword v[0:1], v5, off
	v_lshlrev_b64 v[0:1], 2, v[2:3]
	v_lshrrev_b32_e32 v2, 8, v6
	v_mul_u32_u24_e32 v3, 0x1c2, v2
	v_sub_u32_e32 v3, v4, v3
	s_movk_i32 s0, 0x8ca
	v_mad_u32_u24 v6, v2, s0, v3
	v_mad_u64_u32 v[2:3], s[4:5], s20, v6, 0
	v_add_u32_e32 v12, 0x1c2, v6
	v_add_co_u32_e32 v0, vcc, v8, v0
	v_mad_u64_u32 v[3:4], s[4:5], s21, v6, v[3:4]
	v_mad_u64_u32 v[4:5], s[4:5], s20, v12, 0
	v_addc_co_u32_e32 v1, vcc, v16, v1, vcc
	v_pack_b32_f16 v9, v56, v48
	global_store_dword v[0:1], v9, off
	v_lshlrev_b64 v[0:1], 2, v[2:3]
	v_mov_b32_e32 v2, v5
	v_mad_u64_u32 v[2:3], s[4:5], s21, v12, v[2:3]
	v_add_co_u32_e32 v0, vcc, v8, v0
	v_addc_co_u32_e32 v1, vcc, v16, v1, vcc
	v_pack_b32_f16 v3, v18, v50
	v_mov_b32_e32 v5, v2
	global_store_dword v[0:1], v3, off
	v_lshlrev_b64 v[0:1], 2, v[4:5]
	v_add_u32_e32 v4, 0x384, v6
	v_mad_u64_u32 v[2:3], s[4:5], s20, v4, 0
	v_add_u32_e32 v12, 0x546, v6
	v_add_co_u32_e32 v0, vcc, v8, v0
	v_mad_u64_u32 v[3:4], s[4:5], s21, v4, v[3:4]
	v_mad_u64_u32 v[4:5], s[4:5], s20, v12, 0
	v_addc_co_u32_e32 v1, vcc, v16, v1, vcc
	v_pack_b32_f16 v9, v55, v37
	global_store_dword v[0:1], v9, off
	v_lshlrev_b64 v[0:1], 2, v[2:3]
	v_mov_b32_e32 v2, v5
	v_mad_u64_u32 v[2:3], s[4:5], s21, v12, v[2:3]
	v_add_co_u32_e32 v0, vcc, v8, v0
	v_addc_co_u32_e32 v1, vcc, v16, v1, vcc
	v_pack_b32_f16 v3, v35, v38
	v_mov_b32_e32 v5, v2
	global_store_dword v[0:1], v3, off
	v_lshlrev_b64 v[0:1], 2, v[4:5]
	v_add_u32_e32 v4, 0x708, v6
	v_mad_u64_u32 v[2:3], s[4:5], s20, v4, 0
	v_add_co_u32_e32 v0, vcc, v8, v0
	v_mad_u64_u32 v[3:4], s[4:5], s21, v4, v[3:4]
	v_add_u32_e32 v4, 0xb4, v7
	v_mul_hi_u32 v6, v4, s3
	v_addc_co_u32_e32 v1, vcc, v16, v1, vcc
	v_pack_b32_f16 v5, v32, v51
	global_store_dword v[0:1], v5, off
	v_lshlrev_b64 v[0:1], 2, v[2:3]
	v_lshrrev_b32_e32 v2, 8, v6
	v_mul_u32_u24_e32 v3, 0x1c2, v2
	v_sub_u32_e32 v3, v4, v3
	v_mad_u32_u24 v6, v2, s0, v3
	v_mad_u64_u32 v[2:3], s[4:5], s20, v6, 0
	v_add_u32_e32 v12, 0x1c2, v6
	v_add_co_u32_e32 v0, vcc, v8, v0
	v_mad_u64_u32 v[3:4], s[4:5], s21, v6, v[3:4]
	v_mad_u64_u32 v[4:5], s[4:5], s20, v12, 0
	v_addc_co_u32_e32 v1, vcc, v16, v1, vcc
	v_pack_b32_f16 v9, v52, v53
	global_store_dword v[0:1], v9, off
	v_lshlrev_b64 v[0:1], 2, v[2:3]
	v_mov_b32_e32 v2, v5
	v_mad_u64_u32 v[2:3], s[4:5], s21, v12, v[2:3]
	v_add_co_u32_e32 v0, vcc, v8, v0
	v_addc_co_u32_e32 v1, vcc, v16, v1, vcc
	v_pack_b32_f16 v3, v31, v68
	v_mov_b32_e32 v5, v2
	global_store_dword v[0:1], v3, off
	v_lshlrev_b64 v[0:1], 2, v[4:5]
	v_add_u32_e32 v4, 0x384, v6
	v_mad_u64_u32 v[2:3], s[4:5], s20, v4, 0
	v_add_u32_e32 v12, 0x546, v6
	v_add_co_u32_e32 v0, vcc, v8, v0
	v_mad_u64_u32 v[3:4], s[4:5], s21, v4, v[3:4]
	v_mad_u64_u32 v[4:5], s[4:5], s20, v12, 0
	v_addc_co_u32_e32 v1, vcc, v16, v1, vcc
	v_pack_b32_f16 v9, v41, v65
	global_store_dword v[0:1], v9, off
	v_lshlrev_b64 v[0:1], 2, v[2:3]
	v_mov_b32_e32 v2, v5
	v_mad_u64_u32 v[2:3], s[4:5], s21, v12, v[2:3]
	v_add_co_u32_e32 v0, vcc, v8, v0
	v_addc_co_u32_e32 v1, vcc, v16, v1, vcc
	v_pack_b32_f16 v3, v69, v57
	v_mov_b32_e32 v5, v2
	global_store_dword v[0:1], v3, off
	v_lshlrev_b64 v[0:1], 2, v[4:5]
	v_add_u32_e32 v4, 0x708, v6
	v_mad_u64_u32 v[2:3], s[4:5], s20, v4, 0
	v_add_co_u32_e32 v0, vcc, v8, v0
	v_mad_u64_u32 v[3:4], s[4:5], s21, v4, v[3:4]
	v_add_u32_e32 v4, 0x10e, v7
	v_mul_hi_u32 v6, v4, s3
	v_addc_co_u32_e32 v1, vcc, v16, v1, vcc
	v_pack_b32_f16 v5, v64, v54
	global_store_dword v[0:1], v5, off
	v_lshlrev_b64 v[0:1], 2, v[2:3]
	v_lshrrev_b32_e32 v2, 8, v6
	v_mul_u32_u24_e32 v3, 0x1c2, v2
	v_sub_u32_e32 v3, v4, v3
	v_mad_u32_u24 v6, v2, s0, v3
	v_mad_u64_u32 v[2:3], s[4:5], s20, v6, 0
	v_add_u32_e32 v12, 0x1c2, v6
	v_add_co_u32_e32 v0, vcc, v8, v0
	v_mad_u64_u32 v[3:4], s[4:5], s21, v6, v[3:4]
	v_mad_u64_u32 v[4:5], s[4:5], s20, v12, 0
	v_addc_co_u32_e32 v1, vcc, v16, v1, vcc
	v_pack_b32_f16 v9, v71, v60
	global_store_dword v[0:1], v9, off
	v_lshlrev_b64 v[0:1], 2, v[2:3]
	v_mov_b32_e32 v2, v5
	v_mad_u64_u32 v[2:3], s[4:5], s21, v12, v[2:3]
	v_add_co_u32_e32 v0, vcc, v8, v0
	v_addc_co_u32_e32 v1, vcc, v16, v1, vcc
	v_pack_b32_f16 v3, v40, v44
	v_mov_b32_e32 v5, v2
	global_store_dword v[0:1], v3, off
	v_lshlrev_b64 v[0:1], 2, v[4:5]
	v_add_u32_e32 v4, 0x384, v6
	v_mad_u64_u32 v[2:3], s[4:5], s20, v4, 0
	v_add_u32_e32 v12, 0x546, v6
	v_add_co_u32_e32 v0, vcc, v8, v0
	v_mad_u64_u32 v[3:4], s[4:5], s21, v4, v[3:4]
	v_mad_u64_u32 v[4:5], s[4:5], s20, v12, 0
	v_addc_co_u32_e32 v1, vcc, v16, v1, vcc
	v_pack_b32_f16 v9, v45, v43
	global_store_dword v[0:1], v9, off
	v_lshlrev_b64 v[0:1], 2, v[2:3]
	v_mov_b32_e32 v2, v5
	v_mad_u64_u32 v[2:3], s[4:5], s21, v12, v[2:3]
	v_add_co_u32_e32 v0, vcc, v8, v0
	v_addc_co_u32_e32 v1, vcc, v16, v1, vcc
	v_pack_b32_f16 v3, v42, v36
	v_mov_b32_e32 v5, v2
	global_store_dword v[0:1], v3, off
	v_lshlrev_b64 v[0:1], 2, v[4:5]
	v_add_u32_e32 v4, 0x708, v6
	v_mad_u64_u32 v[2:3], s[4:5], s20, v4, 0
	v_add_u32_e32 v5, 0x168, v7
	v_mul_hi_u32 v7, v5, s3
	v_mad_u64_u32 v[3:4], s[2:3], s21, v4, v[3:4]
	v_add_co_u32_e32 v0, vcc, v8, v0
	v_lshrrev_b32_e32 v4, 8, v7
	v_mul_u32_u24_e32 v7, 0x1c2, v4
	v_sub_u32_e32 v5, v5, v7
	v_mad_u32_u24 v7, v4, s0, v5
	v_mad_u64_u32 v[4:5], s[0:1], s20, v7, 0
	v_addc_co_u32_e32 v1, vcc, v16, v1, vcc
	v_pack_b32_f16 v6, v39, v33
	global_store_dword v[0:1], v6, off
	v_lshlrev_b64 v[0:1], 2, v[2:3]
	v_mov_b32_e32 v2, v5
	v_mad_u64_u32 v[2:3], s[0:1], s21, v7, v[2:3]
	v_add_co_u32_e32 v0, vcc, v8, v0
	v_addc_co_u32_e32 v1, vcc, v16, v1, vcc
	v_pack_b32_f16 v3, v34, v10
	v_mov_b32_e32 v5, v2
	global_store_dword v[0:1], v3, off
	v_lshlrev_b64 v[0:1], 2, v[4:5]
	v_add_u32_e32 v4, 0x1c2, v7
	v_mad_u64_u32 v[2:3], s[0:1], s20, v4, 0
	v_add_u32_e32 v9, 0x384, v7
	v_add_co_u32_e32 v0, vcc, v8, v0
	v_mad_u64_u32 v[3:4], s[0:1], s21, v4, v[3:4]
	v_mad_u64_u32 v[4:5], s[0:1], s20, v9, 0
	v_addc_co_u32_e32 v1, vcc, v16, v1, vcc
	v_pack_b32_f16 v6, v28, v24
	global_store_dword v[0:1], v6, off
	v_lshlrev_b64 v[0:1], 2, v[2:3]
	v_mov_b32_e32 v2, v5
	v_mad_u64_u32 v[2:3], s[0:1], s21, v9, v[2:3]
	v_add_co_u32_e32 v0, vcc, v8, v0
	v_addc_co_u32_e32 v1, vcc, v16, v1, vcc
	v_pack_b32_f16 v3, v25, v23
	v_mov_b32_e32 v5, v2
	global_store_dword v[0:1], v3, off
	v_lshlrev_b64 v[0:1], 2, v[4:5]
	v_add_u32_e32 v4, 0x546, v7
	v_mad_u64_u32 v[2:3], s[0:1], s20, v4, 0
	v_add_u32_e32 v7, 0x708, v7
	v_add_co_u32_e32 v0, vcc, v8, v0
	v_mad_u64_u32 v[3:4], s[0:1], s21, v4, v[3:4]
	v_mad_u64_u32 v[4:5], s[0:1], s20, v7, 0
	v_addc_co_u32_e32 v1, vcc, v16, v1, vcc
	v_pack_b32_f16 v6, v22, v17
	global_store_dword v[0:1], v6, off
	v_lshlrev_b64 v[0:1], 2, v[2:3]
	v_mov_b32_e32 v2, v5
	v_mad_u64_u32 v[2:3], s[0:1], s21, v7, v[2:3]
	v_add_co_u32_e32 v0, vcc, v8, v0
	v_addc_co_u32_e32 v1, vcc, v16, v1, vcc
	v_pack_b32_f16 v3, v14, v13
	v_mov_b32_e32 v5, v2
	global_store_dword v[0:1], v3, off
	v_lshlrev_b64 v[0:1], 2, v[4:5]
	v_pack_b32_f16 v2, v15, v11
	v_add_co_u32_e32 v0, vcc, v8, v0
	v_addc_co_u32_e32 v1, vcc, v16, v1, vcc
	global_store_dword v[0:1], v2, off
.LBB0_37:
	s_endpgm
	.section	.rodata,"a",@progbits
	.p2align	6, 0x0
	.amdhsa_kernel fft_rtc_back_len2250_factors_10_3_5_3_5_wgs_90_tpt_90_halfLds_half_op_CI_CI_sbrr_dirReg
		.amdhsa_group_segment_fixed_size 0
		.amdhsa_private_segment_fixed_size 0
		.amdhsa_kernarg_size 104
		.amdhsa_user_sgpr_count 6
		.amdhsa_user_sgpr_private_segment_buffer 1
		.amdhsa_user_sgpr_dispatch_ptr 0
		.amdhsa_user_sgpr_queue_ptr 0
		.amdhsa_user_sgpr_kernarg_segment_ptr 1
		.amdhsa_user_sgpr_dispatch_id 0
		.amdhsa_user_sgpr_flat_scratch_init 0
		.amdhsa_user_sgpr_private_segment_size 0
		.amdhsa_uses_dynamic_stack 0
		.amdhsa_system_sgpr_private_segment_wavefront_offset 0
		.amdhsa_system_sgpr_workgroup_id_x 1
		.amdhsa_system_sgpr_workgroup_id_y 0
		.amdhsa_system_sgpr_workgroup_id_z 0
		.amdhsa_system_sgpr_workgroup_info 0
		.amdhsa_system_vgpr_workitem_id 0
		.amdhsa_next_free_vgpr 120
		.amdhsa_next_free_sgpr 32
		.amdhsa_reserve_vcc 1
		.amdhsa_reserve_flat_scratch 0
		.amdhsa_float_round_mode_32 0
		.amdhsa_float_round_mode_16_64 0
		.amdhsa_float_denorm_mode_32 3
		.amdhsa_float_denorm_mode_16_64 3
		.amdhsa_dx10_clamp 1
		.amdhsa_ieee_mode 1
		.amdhsa_fp16_overflow 0
		.amdhsa_exception_fp_ieee_invalid_op 0
		.amdhsa_exception_fp_denorm_src 0
		.amdhsa_exception_fp_ieee_div_zero 0
		.amdhsa_exception_fp_ieee_overflow 0
		.amdhsa_exception_fp_ieee_underflow 0
		.amdhsa_exception_fp_ieee_inexact 0
		.amdhsa_exception_int_div_zero 0
	.end_amdhsa_kernel
	.text
.Lfunc_end0:
	.size	fft_rtc_back_len2250_factors_10_3_5_3_5_wgs_90_tpt_90_halfLds_half_op_CI_CI_sbrr_dirReg, .Lfunc_end0-fft_rtc_back_len2250_factors_10_3_5_3_5_wgs_90_tpt_90_halfLds_half_op_CI_CI_sbrr_dirReg
                                        ; -- End function
	.section	.AMDGPU.csdata,"",@progbits
; Kernel info:
; codeLenInByte = 20432
; NumSgprs: 36
; NumVgprs: 120
; ScratchSize: 0
; MemoryBound: 0
; FloatMode: 240
; IeeeMode: 1
; LDSByteSize: 0 bytes/workgroup (compile time only)
; SGPRBlocks: 4
; VGPRBlocks: 29
; NumSGPRsForWavesPerEU: 36
; NumVGPRsForWavesPerEU: 120
; Occupancy: 2
; WaveLimiterHint : 1
; COMPUTE_PGM_RSRC2:SCRATCH_EN: 0
; COMPUTE_PGM_RSRC2:USER_SGPR: 6
; COMPUTE_PGM_RSRC2:TRAP_HANDLER: 0
; COMPUTE_PGM_RSRC2:TGID_X_EN: 1
; COMPUTE_PGM_RSRC2:TGID_Y_EN: 0
; COMPUTE_PGM_RSRC2:TGID_Z_EN: 0
; COMPUTE_PGM_RSRC2:TIDIG_COMP_CNT: 0
	.type	__hip_cuid_21a53c78c1be7a6c,@object ; @__hip_cuid_21a53c78c1be7a6c
	.section	.bss,"aw",@nobits
	.globl	__hip_cuid_21a53c78c1be7a6c
__hip_cuid_21a53c78c1be7a6c:
	.byte	0                               ; 0x0
	.size	__hip_cuid_21a53c78c1be7a6c, 1

	.ident	"AMD clang version 19.0.0git (https://github.com/RadeonOpenCompute/llvm-project roc-6.4.0 25133 c7fe45cf4b819c5991fe208aaa96edf142730f1d)"
	.section	".note.GNU-stack","",@progbits
	.addrsig
	.addrsig_sym __hip_cuid_21a53c78c1be7a6c
	.amdgpu_metadata
---
amdhsa.kernels:
  - .args:
      - .actual_access:  read_only
        .address_space:  global
        .offset:         0
        .size:           8
        .value_kind:     global_buffer
      - .offset:         8
        .size:           8
        .value_kind:     by_value
      - .actual_access:  read_only
        .address_space:  global
        .offset:         16
        .size:           8
        .value_kind:     global_buffer
      - .actual_access:  read_only
        .address_space:  global
        .offset:         24
        .size:           8
        .value_kind:     global_buffer
      - .actual_access:  read_only
        .address_space:  global
        .offset:         32
        .size:           8
        .value_kind:     global_buffer
      - .offset:         40
        .size:           8
        .value_kind:     by_value
      - .actual_access:  read_only
        .address_space:  global
        .offset:         48
        .size:           8
        .value_kind:     global_buffer
      - .actual_access:  read_only
        .address_space:  global
        .offset:         56
        .size:           8
        .value_kind:     global_buffer
      - .offset:         64
        .size:           4
        .value_kind:     by_value
      - .actual_access:  read_only
        .address_space:  global
        .offset:         72
        .size:           8
        .value_kind:     global_buffer
      - .actual_access:  read_only
        .address_space:  global
        .offset:         80
        .size:           8
        .value_kind:     global_buffer
      - .actual_access:  read_only
        .address_space:  global
        .offset:         88
        .size:           8
        .value_kind:     global_buffer
      - .actual_access:  write_only
        .address_space:  global
        .offset:         96
        .size:           8
        .value_kind:     global_buffer
    .group_segment_fixed_size: 0
    .kernarg_segment_align: 8
    .kernarg_segment_size: 104
    .language:       OpenCL C
    .language_version:
      - 2
      - 0
    .max_flat_workgroup_size: 90
    .name:           fft_rtc_back_len2250_factors_10_3_5_3_5_wgs_90_tpt_90_halfLds_half_op_CI_CI_sbrr_dirReg
    .private_segment_fixed_size: 0
    .sgpr_count:     36
    .sgpr_spill_count: 0
    .symbol:         fft_rtc_back_len2250_factors_10_3_5_3_5_wgs_90_tpt_90_halfLds_half_op_CI_CI_sbrr_dirReg.kd
    .uniform_work_group_size: 1
    .uses_dynamic_stack: false
    .vgpr_count:     120
    .vgpr_spill_count: 0
    .wavefront_size: 64
amdhsa.target:   amdgcn-amd-amdhsa--gfx906
amdhsa.version:
  - 1
  - 2
...

	.end_amdgpu_metadata
